;; amdgpu-corpus repo=ROCm/rocFFT kind=compiled arch=gfx1030 opt=O3
	.text
	.amdgcn_target "amdgcn-amd-amdhsa--gfx1030"
	.amdhsa_code_object_version 6
	.protected	fft_rtc_back_len2028_factors_13_4_3_13_wgs_156_tpt_156_dp_op_CI_CI_sbrr_dirReg ; -- Begin function fft_rtc_back_len2028_factors_13_4_3_13_wgs_156_tpt_156_dp_op_CI_CI_sbrr_dirReg
	.globl	fft_rtc_back_len2028_factors_13_4_3_13_wgs_156_tpt_156_dp_op_CI_CI_sbrr_dirReg
	.p2align	8
	.type	fft_rtc_back_len2028_factors_13_4_3_13_wgs_156_tpt_156_dp_op_CI_CI_sbrr_dirReg,@function
fft_rtc_back_len2028_factors_13_4_3_13_wgs_156_tpt_156_dp_op_CI_CI_sbrr_dirReg: ; @fft_rtc_back_len2028_factors_13_4_3_13_wgs_156_tpt_156_dp_op_CI_CI_sbrr_dirReg
; %bb.0:
	s_clause 0x2
	s_load_dwordx4 s[16:19], s[4:5], 0x18
	s_load_dwordx4 s[12:15], s[4:5], 0x0
	;; [unrolled: 1-line block ×3, first 2 shown]
	v_mul_u32_u24_e32 v2, 0x1a5, v0
	v_mov_b32_e32 v1, 0
	v_mov_b32_e32 v4, 0
	;; [unrolled: 1-line block ×3, first 2 shown]
	s_waitcnt lgkmcnt(0)
	s_load_dwordx2 s[20:21], s[16:17], 0x0
	s_load_dwordx2 s[2:3], s[18:19], 0x0
	v_cmp_lt_u64_e64 s0, s[14:15], 2
	v_add_nc_u32_sdwa v6, s6, v2 dst_sel:DWORD dst_unused:UNUSED_PAD src0_sel:DWORD src1_sel:WORD_1
	v_mov_b32_e32 v7, v1
	s_and_b32 vcc_lo, exec_lo, s0
	s_cbranch_vccnz .LBB0_8
; %bb.1:
	s_load_dwordx2 s[0:1], s[4:5], 0x10
	v_mov_b32_e32 v4, 0
	v_mov_b32_e32 v5, 0
	s_add_u32 s6, s18, 8
	s_addc_u32 s7, s19, 0
	s_add_u32 s22, s16, 8
	s_addc_u32 s23, s17, 0
	v_mov_b32_e32 v65, v5
	v_mov_b32_e32 v64, v4
	s_mov_b64 s[26:27], 1
	s_waitcnt lgkmcnt(0)
	s_add_u32 s24, s0, 8
	s_addc_u32 s25, s1, 0
.LBB0_2:                                ; =>This Inner Loop Header: Depth=1
	s_load_dwordx2 s[28:29], s[24:25], 0x0
                                        ; implicit-def: $vgpr66_vgpr67
	s_mov_b32 s0, exec_lo
	s_waitcnt lgkmcnt(0)
	v_or_b32_e32 v2, s29, v7
	v_cmpx_ne_u64_e32 0, v[1:2]
	s_xor_b32 s1, exec_lo, s0
	s_cbranch_execz .LBB0_4
; %bb.3:                                ;   in Loop: Header=BB0_2 Depth=1
	v_cvt_f32_u32_e32 v2, s28
	v_cvt_f32_u32_e32 v3, s29
	s_sub_u32 s0, 0, s28
	s_subb_u32 s30, 0, s29
	v_fmac_f32_e32 v2, 0x4f800000, v3
	v_rcp_f32_e32 v2, v2
	v_mul_f32_e32 v2, 0x5f7ffffc, v2
	v_mul_f32_e32 v3, 0x2f800000, v2
	v_trunc_f32_e32 v3, v3
	v_fmac_f32_e32 v2, 0xcf800000, v3
	v_cvt_u32_f32_e32 v3, v3
	v_cvt_u32_f32_e32 v2, v2
	v_mul_lo_u32 v8, s0, v3
	v_mul_hi_u32 v9, s0, v2
	v_mul_lo_u32 v10, s30, v2
	v_add_nc_u32_e32 v8, v9, v8
	v_mul_lo_u32 v9, s0, v2
	v_add_nc_u32_e32 v8, v8, v10
	v_mul_hi_u32 v10, v2, v9
	v_mul_lo_u32 v11, v2, v8
	v_mul_hi_u32 v12, v2, v8
	v_mul_hi_u32 v13, v3, v9
	v_mul_lo_u32 v9, v3, v9
	v_mul_hi_u32 v14, v3, v8
	v_mul_lo_u32 v8, v3, v8
	v_add_co_u32 v10, vcc_lo, v10, v11
	v_add_co_ci_u32_e32 v11, vcc_lo, 0, v12, vcc_lo
	v_add_co_u32 v9, vcc_lo, v10, v9
	v_add_co_ci_u32_e32 v9, vcc_lo, v11, v13, vcc_lo
	v_add_co_ci_u32_e32 v10, vcc_lo, 0, v14, vcc_lo
	v_add_co_u32 v8, vcc_lo, v9, v8
	v_add_co_ci_u32_e32 v9, vcc_lo, 0, v10, vcc_lo
	v_add_co_u32 v2, vcc_lo, v2, v8
	v_add_co_ci_u32_e32 v3, vcc_lo, v3, v9, vcc_lo
	v_mul_hi_u32 v8, s0, v2
	v_mul_lo_u32 v10, s30, v2
	v_mul_lo_u32 v9, s0, v3
	v_add_nc_u32_e32 v8, v8, v9
	v_mul_lo_u32 v9, s0, v2
	v_add_nc_u32_e32 v8, v8, v10
	v_mul_hi_u32 v10, v2, v9
	v_mul_lo_u32 v11, v2, v8
	v_mul_hi_u32 v12, v2, v8
	v_mul_hi_u32 v13, v3, v9
	v_mul_lo_u32 v9, v3, v9
	v_mul_hi_u32 v14, v3, v8
	v_mul_lo_u32 v8, v3, v8
	v_add_co_u32 v10, vcc_lo, v10, v11
	v_add_co_ci_u32_e32 v11, vcc_lo, 0, v12, vcc_lo
	v_add_co_u32 v9, vcc_lo, v10, v9
	v_add_co_ci_u32_e32 v9, vcc_lo, v11, v13, vcc_lo
	v_add_co_ci_u32_e32 v10, vcc_lo, 0, v14, vcc_lo
	v_add_co_u32 v8, vcc_lo, v9, v8
	v_add_co_ci_u32_e32 v9, vcc_lo, 0, v10, vcc_lo
	v_add_co_u32 v8, vcc_lo, v2, v8
	v_add_co_ci_u32_e32 v10, vcc_lo, v3, v9, vcc_lo
	v_mul_hi_u32 v12, v6, v8
	v_mad_u64_u32 v[8:9], null, v7, v8, 0
	v_mad_u64_u32 v[2:3], null, v6, v10, 0
	v_mad_u64_u32 v[10:11], null, v7, v10, 0
	v_add_co_u32 v2, vcc_lo, v12, v2
	v_add_co_ci_u32_e32 v3, vcc_lo, 0, v3, vcc_lo
	v_add_co_u32 v2, vcc_lo, v2, v8
	v_add_co_ci_u32_e32 v2, vcc_lo, v3, v9, vcc_lo
	v_add_co_ci_u32_e32 v3, vcc_lo, 0, v11, vcc_lo
	v_add_co_u32 v8, vcc_lo, v2, v10
	v_add_co_ci_u32_e32 v9, vcc_lo, 0, v3, vcc_lo
	v_mul_lo_u32 v10, s29, v8
	v_mad_u64_u32 v[2:3], null, s28, v8, 0
	v_mul_lo_u32 v11, s28, v9
	v_sub_co_u32 v2, vcc_lo, v6, v2
	v_add3_u32 v3, v3, v11, v10
	v_sub_nc_u32_e32 v10, v7, v3
	v_subrev_co_ci_u32_e64 v10, s0, s29, v10, vcc_lo
	v_add_co_u32 v11, s0, v8, 2
	v_add_co_ci_u32_e64 v12, s0, 0, v9, s0
	v_sub_co_u32 v13, s0, v2, s28
	v_sub_co_ci_u32_e32 v3, vcc_lo, v7, v3, vcc_lo
	v_subrev_co_ci_u32_e64 v10, s0, 0, v10, s0
	v_cmp_le_u32_e32 vcc_lo, s28, v13
	v_cmp_eq_u32_e64 s0, s29, v3
	v_cndmask_b32_e64 v13, 0, -1, vcc_lo
	v_cmp_le_u32_e32 vcc_lo, s29, v10
	v_cndmask_b32_e64 v14, 0, -1, vcc_lo
	v_cmp_le_u32_e32 vcc_lo, s28, v2
	;; [unrolled: 2-line block ×3, first 2 shown]
	v_cndmask_b32_e64 v15, 0, -1, vcc_lo
	v_cmp_eq_u32_e32 vcc_lo, s29, v10
	v_cndmask_b32_e64 v2, v15, v2, s0
	v_cndmask_b32_e32 v10, v14, v13, vcc_lo
	v_add_co_u32 v13, vcc_lo, v8, 1
	v_add_co_ci_u32_e32 v14, vcc_lo, 0, v9, vcc_lo
	v_cmp_ne_u32_e32 vcc_lo, 0, v10
	v_cndmask_b32_e32 v3, v14, v12, vcc_lo
	v_cndmask_b32_e32 v10, v13, v11, vcc_lo
	v_cmp_ne_u32_e32 vcc_lo, 0, v2
	v_cndmask_b32_e32 v67, v9, v3, vcc_lo
	v_cndmask_b32_e32 v66, v8, v10, vcc_lo
.LBB0_4:                                ;   in Loop: Header=BB0_2 Depth=1
	s_andn2_saveexec_b32 s0, s1
	s_cbranch_execz .LBB0_6
; %bb.5:                                ;   in Loop: Header=BB0_2 Depth=1
	v_cvt_f32_u32_e32 v2, s28
	s_sub_i32 s1, 0, s28
	v_mov_b32_e32 v67, v1
	v_rcp_iflag_f32_e32 v2, v2
	v_mul_f32_e32 v2, 0x4f7ffffe, v2
	v_cvt_u32_f32_e32 v2, v2
	v_mul_lo_u32 v3, s1, v2
	v_mul_hi_u32 v3, v2, v3
	v_add_nc_u32_e32 v2, v2, v3
	v_mul_hi_u32 v2, v6, v2
	v_mul_lo_u32 v3, v2, s28
	v_add_nc_u32_e32 v8, 1, v2
	v_sub_nc_u32_e32 v3, v6, v3
	v_subrev_nc_u32_e32 v9, s28, v3
	v_cmp_le_u32_e32 vcc_lo, s28, v3
	v_cndmask_b32_e32 v3, v3, v9, vcc_lo
	v_cndmask_b32_e32 v2, v2, v8, vcc_lo
	v_cmp_le_u32_e32 vcc_lo, s28, v3
	v_add_nc_u32_e32 v8, 1, v2
	v_cndmask_b32_e32 v66, v2, v8, vcc_lo
.LBB0_6:                                ;   in Loop: Header=BB0_2 Depth=1
	s_or_b32 exec_lo, exec_lo, s0
	v_mul_lo_u32 v8, v67, s28
	v_mul_lo_u32 v9, v66, s29
	s_load_dwordx2 s[0:1], s[22:23], 0x0
	v_mad_u64_u32 v[2:3], null, v66, s28, 0
	s_load_dwordx2 s[28:29], s[6:7], 0x0
	s_add_u32 s26, s26, 1
	s_addc_u32 s27, s27, 0
	s_add_u32 s6, s6, 8
	s_addc_u32 s7, s7, 0
	s_add_u32 s22, s22, 8
	v_add3_u32 v3, v3, v9, v8
	v_sub_co_u32 v2, vcc_lo, v6, v2
	s_addc_u32 s23, s23, 0
	s_add_u32 s24, s24, 8
	v_sub_co_ci_u32_e32 v3, vcc_lo, v7, v3, vcc_lo
	s_addc_u32 s25, s25, 0
	s_waitcnt lgkmcnt(0)
	v_mul_lo_u32 v6, s0, v3
	v_mul_lo_u32 v7, s1, v2
	v_mad_u64_u32 v[4:5], null, s0, v2, v[4:5]
	v_mul_lo_u32 v3, s28, v3
	v_mul_lo_u32 v8, s29, v2
	v_mad_u64_u32 v[64:65], null, s28, v2, v[64:65]
	v_cmp_ge_u64_e64 s0, s[26:27], s[14:15]
	v_add3_u32 v5, v7, v5, v6
	v_add3_u32 v65, v8, v65, v3
	s_and_b32 vcc_lo, exec_lo, s0
	s_cbranch_vccnz .LBB0_9
; %bb.7:                                ;   in Loop: Header=BB0_2 Depth=1
	v_mov_b32_e32 v6, v66
	v_mov_b32_e32 v7, v67
	s_branch .LBB0_2
.LBB0_8:
	v_mov_b32_e32 v65, v5
	v_mov_b32_e32 v67, v7
	;; [unrolled: 1-line block ×4, first 2 shown]
.LBB0_9:
	s_load_dwordx2 s[0:1], s[4:5], 0x28
	v_mul_hi_u32 v1, 0x1a41a42, v0
	s_lshl_b64 s[6:7], s[14:15], 3
                                        ; implicit-def: $sgpr14
                                        ; implicit-def: $vgpr84
                                        ; implicit-def: $vgpr85
                                        ; implicit-def: $vgpr86
                                        ; implicit-def: $vgpr87
	s_add_u32 s4, s18, s6
	s_addc_u32 s5, s19, s7
	s_waitcnt lgkmcnt(0)
	v_cmp_gt_u64_e32 vcc_lo, s[0:1], v[66:67]
	v_cmp_le_u64_e64 s0, s[0:1], v[66:67]
	s_and_saveexec_b32 s1, s0
	s_xor_b32 s0, exec_lo, s1
; %bb.10:
	v_mul_u32_u24_e32 v1, 0x9c, v1
	s_mov_b32 s14, 0
                                        ; implicit-def: $vgpr4_vgpr5
	v_sub_nc_u32_e32 v84, v0, v1
                                        ; implicit-def: $vgpr1
                                        ; implicit-def: $vgpr0
	v_add_nc_u32_e32 v85, 0x9c, v84
	v_add_nc_u32_e32 v86, 0x138, v84
	;; [unrolled: 1-line block ×3, first 2 shown]
; %bb.11:
	s_or_saveexec_b32 s1, s0
	v_mov_b32_e32 v146, s14
                                        ; implicit-def: $vgpr22_vgpr23
                                        ; implicit-def: $vgpr38_vgpr39
                                        ; implicit-def: $vgpr46_vgpr47
                                        ; implicit-def: $vgpr34_vgpr35
                                        ; implicit-def: $vgpr18_vgpr19
                                        ; implicit-def: $vgpr14_vgpr15
                                        ; implicit-def: $vgpr6_vgpr7
                                        ; implicit-def: $vgpr10_vgpr11
                                        ; implicit-def: $vgpr26_vgpr27
                                        ; implicit-def: $vgpr30_vgpr31
                                        ; implicit-def: $vgpr50_vgpr51
                                        ; implicit-def: $vgpr42_vgpr43
                                        ; implicit-def: $vgpr2_vgpr3
	s_xor_b32 exec_lo, exec_lo, s1
	s_cbranch_execz .LBB0_13
; %bb.12:
	s_add_u32 s6, s16, s6
	s_addc_u32 s7, s17, s7
	v_mul_u32_u24_e32 v1, 0x9c, v1
	s_load_dwordx2 s[6:7], s[6:7], 0x0
	v_lshlrev_b64 v[4:5], 4, v[4:5]
	v_sub_nc_u32_e32 v84, v0, v1
	v_add_nc_u32_e32 v85, 0x9c, v84
	v_mad_u64_u32 v[0:1], null, s20, v84, 0
	v_add_nc_u32_e32 v86, 0x138, v84
	v_add_nc_u32_e32 v87, 0x1d4, v84
	v_mad_u64_u32 v[2:3], null, s20, v85, 0
	v_add_nc_u32_e32 v16, 0x270, v84
	v_mad_u64_u32 v[6:7], null, s20, v86, 0
	v_mad_u64_u32 v[10:11], null, s20, v87, 0
	s_waitcnt lgkmcnt(0)
	v_mul_lo_u32 v14, s7, v66
	v_mul_lo_u32 v15, s6, v67
	v_mad_u64_u32 v[8:9], null, s6, v66, 0
	v_mad_u64_u32 v[12:13], null, s21, v84, v[1:2]
	v_add_nc_u32_e32 v17, 0x30c, v84
	v_add_nc_u32_e32 v18, 0x3a8, v84
	v_add_nc_u32_e32 v19, 0x444, v84
	v_add_nc_u32_e32 v24, 0x618, v84
	v_add3_u32 v9, v9, v15, v14
	v_add_nc_u32_e32 v52, 0x6b4, v84
	v_mov_b32_e32 v1, v12
	v_mad_u64_u32 v[12:13], null, s21, v85, v[3:4]
	v_lshlrev_b64 v[8:9], 4, v[8:9]
	v_add_nc_u32_e32 v53, 0x750, v84
	v_lshlrev_b64 v[0:1], 4, v[0:1]
	v_mov_b32_e32 v146, v84
	v_mad_u64_u32 v[13:14], null, s21, v86, v[7:8]
	v_add_co_u32 v7, s0, s8, v8
	v_add_co_ci_u32_e64 v8, s0, s9, v9, s0
	v_mov_b32_e32 v3, v12
	v_add_co_u32 v26, s0, v7, v4
	v_add_co_ci_u32_e64 v27, s0, v8, v5, s0
	v_lshlrev_b64 v[2:3], 4, v[2:3]
	v_add_co_u32 v0, s0, v26, v0
	v_mad_u64_u32 v[8:9], null, s21, v87, v[11:12]
	v_add_co_ci_u32_e64 v1, s0, v27, v1, s0
	v_add_co_u32 v4, s0, v26, v2
	v_mad_u64_u32 v[14:15], null, s20, v16, 0
	v_mov_b32_e32 v7, v13
	v_add_co_ci_u32_e64 v5, s0, v27, v3, s0
	s_clause 0x1
	global_load_dwordx4 v[0:3], v[0:1], off
	global_load_dwordx4 v[20:23], v[4:5], off
	v_lshlrev_b64 v[4:5], 4, v[6:7]
	v_mov_b32_e32 v11, v8
	v_mad_u64_u32 v[7:8], null, s20, v17, 0
	v_mov_b32_e32 v6, v15
	v_lshlrev_b64 v[9:10], 4, v[10:11]
	v_add_co_u32 v4, s0, v26, v4
	v_add_co_ci_u32_e64 v5, s0, v27, v5, s0
	v_mad_u64_u32 v[11:12], null, s21, v16, v[6:7]
	v_mov_b32_e32 v6, v8
	v_add_co_u32 v8, s0, v26, v9
	v_mad_u64_u32 v[12:13], null, s20, v18, 0
	v_add_co_ci_u32_e64 v9, s0, v27, v10, s0
	v_mov_b32_e32 v15, v11
	v_mad_u64_u32 v[10:11], null, s21, v17, v[6:7]
	v_mad_u64_u32 v[16:17], null, s20, v19, 0
	v_mov_b32_e32 v6, v13
	s_clause 0x1
	global_load_dwordx4 v[36:39], v[4:5], off
	global_load_dwordx4 v[40:43], v[8:9], off
	v_lshlrev_b64 v[4:5], 4, v[14:15]
	v_mov_b32_e32 v8, v10
	v_mad_u64_u32 v[13:14], null, s21, v18, v[6:7]
	v_mov_b32_e32 v6, v17
	v_add_nc_u32_e32 v14, 0x4e0, v84
	v_lshlrev_b64 v[7:8], 4, v[7:8]
	v_add_co_u32 v4, s0, v26, v4
	v_add_co_ci_u32_e64 v5, s0, v27, v5, s0
	v_add_nc_u32_e32 v18, 0x57c, v84
	v_mad_u64_u32 v[9:10], null, s21, v19, v[6:7]
	v_lshlrev_b64 v[10:11], 4, v[12:13]
	v_mad_u64_u32 v[12:13], null, s20, v14, 0
	v_add_co_u32 v6, s0, v26, v7
	v_add_co_ci_u32_e64 v7, s0, v27, v8, s0
	v_mov_b32_e32 v17, v9
	s_clause 0x1
	global_load_dwordx4 v[48:51], v[4:5], off
	global_load_dwordx4 v[44:47], v[6:7], off
	v_mov_b32_e32 v6, v13
	v_add_co_u32 v4, s0, v26, v10
	v_lshlrev_b64 v[7:8], 4, v[16:17]
	v_add_co_ci_u32_e64 v5, s0, v27, v11, s0
	v_mad_u64_u32 v[16:17], null, s20, v52, 0
	v_mad_u64_u32 v[9:10], null, s21, v14, v[6:7]
	v_mad_u64_u32 v[10:11], null, s20, v18, 0
	v_mad_u64_u32 v[14:15], null, s20, v24, 0
	v_add_co_u32 v6, s0, v26, v7
	v_add_co_ci_u32_e64 v7, s0, v27, v8, s0
	v_mov_b32_e32 v13, v9
	v_mov_b32_e32 v8, v11
	;; [unrolled: 1-line block ×3, first 2 shown]
	s_clause 0x1
	global_load_dwordx4 v[32:35], v[4:5], off
	global_load_dwordx4 v[28:31], v[6:7], off
	v_mov_b32_e32 v4, v17
	v_lshlrev_b64 v[5:6], 4, v[12:13]
	v_mad_u64_u32 v[18:19], null, s21, v18, v[8:9]
	v_mad_u64_u32 v[8:9], null, s21, v24, v[9:10]
	;; [unrolled: 1-line block ×3, first 2 shown]
	v_mov_b32_e32 v11, v18
	v_mov_b32_e32 v15, v8
	v_mad_u64_u32 v[7:8], null, s21, v52, v[4:5]
	v_mov_b32_e32 v4, v25
	v_add_co_u32 v5, s0, v26, v5
	v_lshlrev_b64 v[8:9], 4, v[10:11]
	v_add_co_ci_u32_e64 v6, s0, v27, v6, s0
	v_mad_u64_u32 v[10:11], null, s21, v53, v[4:5]
	v_lshlrev_b64 v[11:12], 4, v[14:15]
	v_mov_b32_e32 v17, v7
	v_add_co_u32 v7, s0, v26, v8
	v_add_co_ci_u32_e64 v8, s0, v27, v9, s0
	v_mov_b32_e32 v25, v10
	v_lshlrev_b64 v[13:14], 4, v[16:17]
	v_add_co_u32 v9, s0, v26, v11
	v_add_co_ci_u32_e64 v10, s0, v27, v12, s0
	v_lshlrev_b64 v[11:12], 4, v[24:25]
	v_add_co_u32 v52, s0, v26, v13
	v_add_co_ci_u32_e64 v53, s0, v27, v14, s0
	v_add_co_u32 v54, s0, v26, v11
	v_add_co_ci_u32_e64 v55, s0, v27, v12, s0
	s_clause 0x4
	global_load_dwordx4 v[24:27], v[5:6], off
	global_load_dwordx4 v[16:19], v[7:8], off
	;; [unrolled: 1-line block ×5, first 2 shown]
.LBB0_13:
	s_or_b32 exec_lo, exec_lo, s1
	s_waitcnt vmcnt(11)
	v_add_f64 v[52:53], v[20:21], v[0:1]
	v_add_f64 v[54:55], v[22:23], v[2:3]
	s_waitcnt vmcnt(4)
	v_add_f64 v[56:57], v[44:45], v[24:25]
	v_add_f64 v[72:73], v[44:45], -v[24:25]
	s_waitcnt vmcnt(0)
	v_add_f64 v[92:93], v[22:23], -v[6:7]
	v_add_f64 v[96:97], v[22:23], v[6:7]
	v_add_f64 v[62:63], v[34:35], -v[30:31]
	v_add_f64 v[94:95], v[20:21], v[4:5]
	v_add_f64 v[20:21], v[20:21], -v[4:5]
	s_mov_b32 s23, 0xbfddbe06
	s_mov_b32 s22, 0x4267c47c
	v_add_f64 v[68:69], v[16:17], v[48:49]
	v_add_f64 v[70:71], v[18:19], v[50:51]
	v_add_f64 v[76:77], v[48:49], -v[16:17]
	v_add_f64 v[78:79], v[50:51], -v[18:19]
	s_mov_b32 s28, 0x42a4c3d2
	s_mov_b32 s20, 0xe00740e9
	;; [unrolled: 1-line block ×4, first 2 shown]
	v_add_f64 v[58:59], v[46:47], v[26:27]
	v_add_f64 v[74:75], v[46:47], -v[26:27]
	s_mov_b32 s34, 0x66966769
	v_add_f64 v[52:53], v[36:37], v[52:53]
	v_add_f64 v[54:55], v[38:39], v[54:55]
	s_mov_b32 s18, 0x2ef20147
	s_mov_b32 s26, 0x24c2f84
	;; [unrolled: 1-line block ×6, first 2 shown]
	v_mul_f64 v[100:101], v[20:21], s[22:23]
	v_mul_f64 v[102:103], v[20:21], s[28:29]
	s_mov_b32 s27, 0xbfe5384d
	s_mov_b32 s31, 0xbfcea1e5
	;; [unrolled: 1-line block ×3, first 2 shown]
	v_mul_f64 v[98:99], v[92:93], s[26:27]
	v_mul_f64 v[104:105], v[20:21], s[34:35]
	;; [unrolled: 1-line block ×3, first 2 shown]
	s_mov_b32 s6, 0xebaa3ed8
	s_mov_b32 s8, 0xb2365da1
	;; [unrolled: 1-line block ×6, first 2 shown]
	v_add_f64 v[80:81], v[40:41], v[52:53]
	v_add_f64 v[82:83], v[42:43], v[54:55]
	;; [unrolled: 1-line block ×3, first 2 shown]
	s_mov_b32 s17, 0xbfe7f3cc
	s_mov_b32 s1, 0xbfef11f4
	v_mul_f64 v[106:107], v[20:21], s[18:19]
	v_mul_f64 v[110:111], v[20:21], s[30:31]
	;; [unrolled: 1-line block ×3, first 2 shown]
	v_fma_f64 v[151:152], v[96:97], s[20:21], -v[100:101]
	v_fma_f64 v[175:176], v[96:97], s[14:15], -v[102:103]
	v_fma_f64 v[102:103], v[96:97], s[14:15], v[102:103]
	v_mul_f64 v[122:123], v[76:77], s[18:19]
	s_mov_b32 s37, 0x3fe5384d
	s_mov_b32 s39, 0x3fedeba7
	;; [unrolled: 1-line block ×4, first 2 shown]
	v_add_f64 v[52:53], v[32:33], v[28:29]
	v_add_f64 v[60:61], v[32:33], -v[28:29]
	v_mul_f64 v[132:133], v[78:79], s[36:37]
	v_fma_f64 v[100:101], v[96:97], s[20:21], v[100:101]
	v_mul_f64 v[134:135], v[76:77], s[36:37]
	s_mov_b32 s25, 0x3fefc445
	v_add_f64 v[88:89], v[48:49], v[80:81]
	v_add_f64 v[90:91], v[50:51], v[82:83]
	;; [unrolled: 1-line block ×4, first 2 shown]
	v_add_f64 v[80:81], v[40:41], -v[12:13]
	v_add_f64 v[82:83], v[42:43], -v[14:15]
	v_add_f64 v[40:41], v[36:37], v[8:9]
	v_add_f64 v[42:43], v[38:39], v[10:11]
	v_add_f64 v[36:37], v[36:37], -v[8:9]
	v_add_f64 v[38:39], v[38:39], -v[10:11]
	v_add_f64 v[151:152], v[151:152], v[2:3]
	v_add_f64 v[175:176], v[175:176], v[2:3]
	;; [unrolled: 1-line block ×3, first 2 shown]
	s_mov_b32 s24, s34
	v_mul_f64 v[20:21], v[62:63], s[30:31]
	v_mul_f64 v[136:137], v[74:75], s[24:25]
	;; [unrolled: 1-line block ×7, first 2 shown]
	v_add_f64 v[100:101], v[100:101], v[2:3]
	v_add_f64 v[22:23], v[44:45], v[88:89]
	;; [unrolled: 1-line block ×3, first 2 shown]
	v_mul_f64 v[46:47], v[92:93], s[28:29]
	v_mul_f64 v[88:89], v[92:93], s[34:35]
	;; [unrolled: 1-line block ×14, first 2 shown]
	s_mov_b32 s35, 0x3fea55e2
	s_mov_b32 s34, s28
	s_load_dwordx2 s[4:5], s[4:5], 0x0
	v_add_f64 v[22:23], v[32:33], v[22:23]
	v_add_f64 v[34:35], v[34:35], v[44:45]
	v_mul_f64 v[44:45], v[92:93], s[22:23]
	v_mul_f64 v[92:93], v[92:93], s[30:31]
	v_fma_f64 v[169:170], v[94:95], s[14:15], v[46:47]
	v_fma_f64 v[46:47], v[94:95], s[14:15], -v[46:47]
	v_fma_f64 v[181:182], v[94:95], s[6:7], v[88:89]
	v_fma_f64 v[88:89], v[94:95], s[6:7], -v[88:89]
	v_fma_f64 v[179:180], v[42:43], s[14:15], -v[114:115]
	v_fma_f64 v[177:178], v[40:41], s[14:15], v[112:113]
	v_fma_f64 v[187:188], v[48:49], s[6:7], v[116:117]
	v_fma_f64 v[189:190], v[50:51], s[6:7], -v[118:119]
	v_fma_f64 v[185:186], v[42:43], s[8:9], -v[126:127]
	v_mul_f64 v[32:33], v[74:75], s[26:27]
	v_fma_f64 v[191:192], v[48:49], s[0:1], v[128:129]
	v_fma_f64 v[128:129], v[48:49], s[0:1], -v[128:129]
	s_mov_b32 s23, 0x3fddbe06
	v_mul_f64 v[165:166], v[78:79], s[22:23]
	v_mul_f64 v[167:168], v[76:77], s[22:23]
	;; [unrolled: 1-line block ×4, first 2 shown]
	v_add_f64 v[124:125], v[28:29], v[22:23]
	v_add_f64 v[30:31], v[30:31], v[34:35]
	v_fma_f64 v[142:143], v[94:95], s[20:21], v[44:45]
	v_mul_f64 v[34:35], v[38:39], s[18:19]
	v_fma_f64 v[44:45], v[94:95], s[20:21], -v[44:45]
	v_fma_f64 v[183:184], v[94:95], s[0:1], v[92:93]
	v_fma_f64 v[92:93], v[94:95], s[0:1], -v[92:93]
	v_add_f64 v[169:170], v[169:170], v[0:1]
	v_add_f64 v[151:152], v[179:180], v[151:152]
	v_mul_f64 v[28:29], v[72:73], s[26:27]
	v_fma_f64 v[179:180], v[96:97], s[8:9], -v[106:107]
	v_fma_f64 v[106:107], v[96:97], s[8:9], v[106:107]
	v_add_f64 v[181:182], v[181:182], v[0:1]
	v_add_f64 v[175:176], v[185:186], v[175:176]
	v_fma_f64 v[185:186], v[50:51], s[0:1], -v[130:131]
	v_fma_f64 v[130:131], v[50:51], s[0:1], v[130:131]
	v_mul_f64 v[22:23], v[60:61], s[30:31]
	v_add_f64 v[88:89], v[88:89], v[0:1]
	s_mov_b32 s31, 0x3fcea1e5
	v_mul_f64 v[161:162], v[62:63], s[22:23]
	v_mul_f64 v[163:164], v[60:61], s[22:23]
	v_add_f64 v[24:25], v[24:25], v[124:125]
	v_add_f64 v[26:27], v[26:27], v[30:31]
	v_add_f64 v[142:143], v[142:143], v[0:1]
	v_mul_f64 v[30:31], v[38:39], s[36:37]
	v_mul_f64 v[124:125], v[36:37], s[36:37]
	v_add_f64 v[44:45], v[44:45], v[0:1]
	v_add_f64 v[151:152], v[189:190], v[151:152]
	v_fma_f64 v[189:190], v[42:43], s[0:1], -v[144:145]
	v_fma_f64 v[144:145], v[42:43], s[0:1], v[144:145]
	v_add_f64 v[179:180], v[179:180], v[2:3]
	v_add_f64 v[106:107], v[106:107], v[2:3]
	;; [unrolled: 1-line block ×3, first 2 shown]
	v_fma_f64 v[185:186], v[56:57], s[6:7], v[136:137]
	v_fma_f64 v[136:137], v[56:57], s[6:7], -v[136:137]
	v_add_f64 v[16:17], v[16:17], v[24:25]
	v_add_f64 v[18:19], v[18:19], v[26:27]
	v_fma_f64 v[24:25], v[94:95], s[8:9], v[90:91]
	v_fma_f64 v[26:27], v[94:95], s[8:9], -v[90:91]
	v_fma_f64 v[90:91], v[94:95], s[16:17], v[98:99]
	v_fma_f64 v[98:99], v[94:95], s[16:17], -v[98:99]
	v_fma_f64 v[94:95], v[40:41], s[8:9], v[34:35]
	v_add_f64 v[142:143], v[177:178], v[142:143]
	v_fma_f64 v[177:178], v[96:97], s[6:7], -v[104:105]
	v_fma_f64 v[104:105], v[96:97], s[6:7], v[104:105]
	v_add_f64 v[12:13], v[12:13], v[16:17]
	v_add_f64 v[14:15], v[14:15], v[18:19]
	v_fma_f64 v[18:19], v[40:41], s[8:9], -v[34:35]
	v_add_f64 v[34:35], v[46:47], v[0:1]
	v_fma_f64 v[16:17], v[96:97], s[16:17], -v[108:109]
	v_fma_f64 v[46:47], v[96:97], s[16:17], v[108:109]
	v_fma_f64 v[108:109], v[42:43], s[8:9], v[126:127]
	v_fma_f64 v[126:127], v[96:97], s[0:1], -v[110:111]
	v_add_f64 v[94:95], v[94:95], v[169:170]
	v_fma_f64 v[169:170], v[40:41], s[0:1], v[140:141]
	v_add_f64 v[142:143], v[187:188], v[142:143]
	v_fma_f64 v[187:188], v[68:69], s[8:9], v[120:121]
	v_fma_f64 v[96:97], v[96:97], s[0:1], v[110:111]
	v_fma_f64 v[110:111], v[70:71], s[8:9], -v[122:123]
	v_add_f64 v[177:178], v[177:178], v[2:3]
	v_fma_f64 v[140:141], v[40:41], s[0:1], -v[140:141]
	v_add_f64 v[104:105], v[104:105], v[2:3]
	v_add_f64 v[24:25], v[24:25], v[0:1]
	;; [unrolled: 1-line block ×7, first 2 shown]
	v_fma_f64 v[8:9], v[56:57], s[16:17], v[32:33]
	v_add_f64 v[18:19], v[18:19], v[34:35]
	v_fma_f64 v[10:11], v[58:59], s[16:17], -v[28:29]
	v_fma_f64 v[34:35], v[52:53], s[0:1], v[20:21]
	v_add_f64 v[102:103], v[108:109], v[102:103]
	v_fma_f64 v[108:109], v[54:55], s[0:1], -v[22:23]
	v_add_f64 v[94:95], v[191:192], v[94:95]
	v_fma_f64 v[191:192], v[68:69], s[16:17], v[132:133]
	v_add_f64 v[169:170], v[169:170], v[181:182]
	v_add_f64 v[142:143], v[187:188], v[142:143]
	v_fma_f64 v[132:133], v[68:69], s[16:17], -v[132:133]
	v_add_f64 v[110:111], v[110:111], v[151:152]
	v_fma_f64 v[151:152], v[48:49], s[8:9], v[147:148]
	v_fma_f64 v[181:182], v[70:71], s[16:17], -v[134:135]
	v_add_f64 v[177:178], v[189:190], v[177:178]
	v_fma_f64 v[189:190], v[50:51], s[8:9], -v[149:150]
	v_fma_f64 v[134:135], v[70:71], s[16:17], v[134:135]
	v_fma_f64 v[147:148], v[48:49], s[8:9], -v[147:148]
	v_add_f64 v[88:89], v[140:141], v[88:89]
	v_fma_f64 v[149:150], v[50:51], s[8:9], v[149:150]
	v_add_f64 v[104:105], v[144:145], v[104:105]
	v_fma_f64 v[187:188], v[58:59], s[6:7], -v[138:139]
	v_add_f64 v[6:7], v[6:7], v[14:15]
	v_add_f64 v[18:19], v[128:129], v[18:19]
	v_fma_f64 v[128:129], v[40:41], s[16:17], v[30:31]
	v_fma_f64 v[30:31], v[40:41], s[16:17], -v[30:31]
	v_add_f64 v[102:103], v[130:131], v[102:103]
	v_fma_f64 v[130:131], v[42:43], s[16:17], -v[124:125]
	v_fma_f64 v[124:125], v[42:43], s[16:17], v[124:125]
	v_add_f64 v[94:95], v[191:192], v[94:95]
	v_fma_f64 v[191:192], v[68:69], s[20:21], v[165:166]
	v_add_f64 v[8:9], v[8:9], v[142:143]
	;; [unrolled: 2-line block ×3, first 2 shown]
	v_fma_f64 v[110:111], v[50:51], s[20:21], -v[173:174]
	v_add_f64 v[175:176], v[181:182], v[175:176]
	v_fma_f64 v[181:182], v[70:71], s[20:21], -v[167:168]
	v_fma_f64 v[140:141], v[70:71], s[6:7], -v[159:160]
	v_mul_f64 v[144:145], v[72:73], s[30:31]
	v_add_f64 v[16:17], v[16:17], v[2:3]
	v_add_f64 v[88:89], v[147:148], v[88:89]
	;; [unrolled: 1-line block ×15, first 2 shown]
	v_fma_f64 v[34:35], v[58:59], s[6:7], v[138:139]
	v_add_f64 v[10:11], v[108:109], v[10:11]
	v_fma_f64 v[130:131], v[68:69], s[20:21], -v[165:166]
	v_fma_f64 v[134:135], v[56:57], s[14:15], v[153:154]
	v_mul_f64 v[138:139], v[38:39], s[24:25]
	v_add_f64 v[26:27], v[30:31], v[26:27]
	v_add_f64 v[30:31], v[124:125], v[106:107]
	v_fma_f64 v[106:107], v[48:49], s[20:21], -v[171:172]
	v_fma_f64 v[124:125], v[50:51], s[20:21], v[173:174]
	v_mul_f64 v[38:39], v[38:39], s[22:23]
	v_add_f64 v[4:5], v[4:5], v[12:13]
	v_fma_f64 v[12:13], v[52:53], s[20:21], v[161:162]
	v_fma_f64 v[147:148], v[52:53], s[20:21], -v[161:162]
	v_add_f64 v[18:19], v[136:137], v[18:19]
	v_add_f64 v[108:109], v[191:192], v[132:133]
	;; [unrolled: 1-line block ×3, first 2 shown]
	v_fma_f64 v[132:133], v[70:71], s[20:21], v[167:168]
	v_fma_f64 v[136:137], v[58:59], s[14:15], -v[155:156]
	v_add_f64 v[24:25], v[142:143], v[24:25]
	v_add_f64 v[92:93], v[110:111], v[92:93]
	v_fma_f64 v[110:111], v[68:69], s[6:7], v[157:158]
	v_mul_f64 v[142:143], v[74:75], s[30:31]
	v_add_f64 v[34:35], v[34:35], v[14:15]
	v_mul_f64 v[14:15], v[62:63], s[26:27]
	v_add_f64 v[88:89], v[130:131], v[88:89]
	v_fma_f64 v[130:131], v[56:57], s[14:15], -v[153:154]
	v_mul_f64 v[153:154], v[36:37], s[24:25]
	v_mul_f64 v[36:37], v[36:37], s[22:23]
	;; [unrolled: 1-line block ×3, first 2 shown]
	v_add_f64 v[26:27], v[106:107], v[26:27]
	v_fma_f64 v[106:107], v[68:69], s[6:7], -v[157:158]
	v_add_f64 v[30:31], v[124:125], v[30:31]
	v_fma_f64 v[124:125], v[70:71], s[6:7], v[159:160]
	v_mul_f64 v[161:162], v[62:63], s[34:35]
	v_mul_f64 v[159:160], v[60:61], s[34:35]
	v_fma_f64 v[32:33], v[56:57], s[16:17], -v[32:33]
	v_add_f64 v[108:109], v[134:135], v[108:109]
	v_fma_f64 v[134:135], v[40:41], s[6:7], v[138:139]
	v_add_f64 v[104:105], v[132:133], v[104:105]
	v_fma_f64 v[132:133], v[58:59], s[14:15], v[155:156]
	v_mul_f64 v[155:156], v[82:83], s[28:29]
	v_add_f64 v[128:129], v[136:137], v[128:129]
	v_add_f64 v[24:25], v[110:111], v[24:25]
	;; [unrolled: 1-line block ×3, first 2 shown]
	v_fma_f64 v[110:111], v[56:57], s[0:1], v[142:143]
	v_fma_f64 v[136:137], v[58:59], s[0:1], -v[144:145]
	v_fma_f64 v[140:141], v[52:53], s[16:17], v[14:15]
	v_add_f64 v[88:89], v[130:131], v[88:89]
	v_fma_f64 v[130:131], v[52:53], s[16:17], -v[14:15]
	v_fma_f64 v[138:139], v[40:41], s[6:7], -v[138:139]
	v_mul_f64 v[82:83], v[82:83], s[26:27]
	v_fma_f64 v[28:29], v[58:59], s[16:17], v[28:29]
	v_add_f64 v[26:27], v[106:107], v[26:27]
	v_mul_f64 v[106:107], v[78:79], s[30:31]
	v_add_f64 v[30:31], v[124:125], v[30:31]
	v_mul_f64 v[78:79], v[78:79], s[34:35]
	v_add_f64 v[94:95], v[185:186], v[94:95]
	v_add_f64 v[96:97], v[187:188], v[175:176]
	v_fma_f64 v[102:103], v[54:55], s[20:21], -v[163:164]
	v_add_f64 v[14:15], v[134:135], v[90:91]
	v_fma_f64 v[90:91], v[42:43], s[6:7], -v[153:154]
	v_mul_f64 v[134:135], v[80:81], s[28:29]
	v_add_f64 v[104:105], v[132:133], v[104:105]
	v_fma_f64 v[132:133], v[48:49], s[14:15], v[155:156]
	v_fma_f64 v[153:154], v[42:43], s[6:7], v[153:154]
	v_mul_f64 v[80:81], v[80:81], s[26:27]
	v_add_f64 v[110:111], v[110:111], v[24:25]
	v_add_f64 v[92:93], v[136:137], v[92:93]
	v_fma_f64 v[24:25], v[40:41], s[20:21], v[38:39]
	v_fma_f64 v[136:137], v[42:43], s[20:21], -v[36:37]
	v_fma_f64 v[38:39], v[40:41], s[20:21], -v[38:39]
	v_fma_f64 v[36:37], v[42:43], s[20:21], v[36:37]
	v_fma_f64 v[40:41], v[40:41], s[14:15], -v[112:113]
	v_fma_f64 v[42:43], v[42:43], s[14:15], v[114:115]
	v_mul_f64 v[114:115], v[76:77], s[30:31]
	v_add_f64 v[98:99], v[138:139], v[98:99]
	v_fma_f64 v[124:125], v[48:49], s[14:15], -v[155:156]
	v_mul_f64 v[76:77], v[76:77], s[34:35]
	v_fma_f64 v[112:113], v[56:57], s[0:1], -v[142:143]
	v_fma_f64 v[149:150], v[54:55], s[20:21], v[163:164]
	v_fma_f64 v[163:164], v[54:55], s[16:17], -v[151:152]
	v_fma_f64 v[157:158], v[52:53], s[14:15], v[161:162]
	v_add_f64 v[16:17], v[90:91], v[16:17]
	v_fma_f64 v[90:91], v[50:51], s[14:15], -v[134:135]
	v_fma_f64 v[151:152], v[54:55], s[16:17], v[151:152]
	v_add_f64 v[14:15], v[132:133], v[14:15]
	v_add_f64 v[46:47], v[153:154], v[46:47]
	v_fma_f64 v[132:133], v[50:51], s[14:15], v[134:135]
	v_fma_f64 v[134:135], v[48:49], s[16:17], v[82:83]
	v_add_f64 v[12:13], v[12:13], v[94:95]
	v_add_f64 v[24:25], v[24:25], v[169:170]
	;; [unrolled: 1-line block ×3, first 2 shown]
	v_fma_f64 v[136:137], v[50:51], s[16:17], -v[80:81]
	v_add_f64 v[0:1], v[38:39], v[0:1]
	v_add_f64 v[2:3], v[36:37], v[2:3]
	v_fma_f64 v[36:37], v[48:49], s[16:17], -v[82:83]
	v_fma_f64 v[38:39], v[50:51], s[16:17], v[80:81]
	v_add_f64 v[40:41], v[40:41], v[44:45]
	v_add_f64 v[42:43], v[42:43], v[100:101]
	v_fma_f64 v[44:45], v[48:49], s[6:7], -v[116:117]
	v_fma_f64 v[48:49], v[50:51], s[6:7], v[118:119]
	v_fma_f64 v[80:81], v[68:69], s[0:1], v[106:107]
	v_fma_f64 v[82:83], v[70:71], s[0:1], -v[114:115]
	v_mul_f64 v[100:101], v[72:73], s[22:23]
	v_add_f64 v[98:99], v[124:125], v[98:99]
	v_add_f64 v[16:17], v[90:91], v[16:17]
	v_mul_f64 v[90:91], v[74:75], s[22:23]
	v_fma_f64 v[106:107], v[68:69], s[0:1], -v[106:107]
	v_fma_f64 v[114:115], v[70:71], s[0:1], v[114:115]
	v_add_f64 v[46:47], v[132:133], v[46:47]
	v_fma_f64 v[118:119], v[68:69], s[14:15], v[78:79]
	v_fma_f64 v[124:125], v[70:71], s[14:15], -v[76:77]
	v_add_f64 v[24:25], v[134:135], v[24:25]
	v_mul_f64 v[74:75], v[74:75], s[18:19]
	v_add_f64 v[116:117], v[136:137], v[126:127]
	v_mul_f64 v[72:73], v[72:73], s[18:19]
	v_fma_f64 v[50:51], v[58:59], s[0:1], v[144:145]
	v_add_f64 v[0:1], v[36:37], v[0:1]
	v_add_f64 v[2:3], v[38:39], v[2:3]
	v_fma_f64 v[36:37], v[68:69], s[14:15], -v[78:79]
	v_fma_f64 v[38:39], v[70:71], s[14:15], v[76:77]
	v_add_f64 v[40:41], v[44:45], v[40:41]
	v_add_f64 v[42:43], v[48:49], v[42:43]
	v_fma_f64 v[44:45], v[68:69], s[8:9], -v[120:121]
	v_fma_f64 v[48:49], v[70:71], s[8:9], v[122:123]
	v_add_f64 v[14:15], v[80:81], v[14:15]
	v_fma_f64 v[70:71], v[58:59], s[20:21], -v[100:101]
	v_add_f64 v[16:17], v[82:83], v[16:17]
	v_fma_f64 v[68:69], v[56:57], s[20:21], v[90:91]
	v_mul_f64 v[76:77], v[62:63], s[18:19]
	v_mul_f64 v[78:79], v[60:61], s[18:19]
	v_add_f64 v[80:81], v[106:107], v[98:99]
	v_add_f64 v[46:47], v[114:115], v[46:47]
	v_fma_f64 v[82:83], v[56:57], s[20:21], -v[90:91]
	v_fma_f64 v[90:91], v[58:59], s[20:21], v[100:101]
	v_add_f64 v[24:25], v[118:119], v[24:25]
	v_add_f64 v[98:99], v[124:125], v[116:117]
	v_fma_f64 v[100:101], v[56:57], s[8:9], v[74:75]
	v_fma_f64 v[106:107], v[58:59], s[8:9], -v[72:73]
	v_mul_f64 v[62:63], v[62:63], s[24:25]
	v_mul_f64 v[60:61], v[60:61], s[24:25]
	v_add_f64 v[0:1], v[36:37], v[0:1]
	v_add_f64 v[2:3], v[38:39], v[2:3]
	v_fma_f64 v[36:37], v[56:57], s[8:9], -v[74:75]
	v_fma_f64 v[38:39], v[58:59], s[8:9], v[72:73]
	v_add_f64 v[40:41], v[44:45], v[40:41]
	v_add_f64 v[42:43], v[48:49], v[42:43]
	v_fma_f64 v[72:73], v[54:55], s[14:15], -v[159:160]
	v_add_f64 v[56:57], v[50:51], v[30:31]
	v_add_f64 v[50:51], v[70:71], v[16:17]
	;; [unrolled: 1-line block ×3, first 2 shown]
	v_fma_f64 v[68:69], v[52:53], s[8:9], v[76:77]
	v_fma_f64 v[70:71], v[54:55], s[8:9], -v[78:79]
	v_add_f64 v[26:27], v[112:113], v[26:27]
	v_fma_f64 v[44:45], v[52:53], s[14:15], -v[161:162]
	v_add_f64 v[74:75], v[82:83], v[80:81]
	v_add_f64 v[80:81], v[90:91], v[46:47]
	v_fma_f64 v[46:47], v[52:53], s[8:9], -v[76:77]
	v_fma_f64 v[78:79], v[54:55], s[8:9], v[78:79]
	v_add_f64 v[76:77], v[100:101], v[24:25]
	v_add_f64 v[82:83], v[106:107], v[98:99]
	v_fma_f64 v[90:91], v[52:53], s[6:7], v[62:63]
	v_fma_f64 v[98:99], v[54:55], s[6:7], -v[60:61]
	v_fma_f64 v[62:63], v[52:53], s[6:7], -v[62:63]
	v_fma_f64 v[60:61], v[54:55], s[6:7], v[60:61]
	v_add_f64 v[0:1], v[36:37], v[0:1]
	v_add_f64 v[2:3], v[38:39], v[2:3]
	v_fma_f64 v[58:59], v[54:55], s[14:15], v[159:160]
	v_add_f64 v[100:101], v[32:33], v[40:41]
	v_add_f64 v[106:107], v[28:29], v[42:43]
	v_fma_f64 v[52:53], v[52:53], s[0:1], -v[20:21]
	v_fma_f64 v[54:55], v[54:55], s[0:1], v[22:23]
	v_add_f64 v[14:15], v[102:103], v[96:97]
	v_add_f64 v[20:21], v[140:141], v[108:109]
	;; [unrolled: 1-line block ×19, first 2 shown]
	v_lshl_add_u32 v69, v85, 4, 0
	v_add_f64 v[0:1], v[52:53], v[100:101]
	v_add_f64 v[2:3], v[54:55], v[106:107]
	v_mad_u32_u24 v52, 0xd0, v84, 0
	ds_write_b128 v52, v[4:7]
	ds_write_b128 v52, v[8:11] offset:16
	ds_write_b128 v52, v[12:15] offset:32
	;; [unrolled: 1-line block ×12, first 2 shown]
	v_mad_i32_i24 v68, 0xffffff40, v84, v52
	s_waitcnt lgkmcnt(0)
	s_barrier
	buffer_gl0_inv
	v_lshl_add_u32 v70, v86, 4, 0
	ds_read_b128 v[8:11], v68
	ds_read_b128 v[44:47], v68 offset:8112
	ds_read_b128 v[32:35], v68 offset:16224
	;; [unrolled: 1-line block ×3, first 2 shown]
	ds_read_b128 v[12:15], v69
	ds_read_b128 v[4:7], v70
	ds_read_b128 v[36:39], v68 offset:10608
	ds_read_b128 v[20:23], v68 offset:13104
	;; [unrolled: 1-line block ×6, first 2 shown]
	v_cmp_gt_u32_e64 s0, 39, v84
	v_lshl_add_u32 v71, v87, 4, 0
                                        ; implicit-def: $vgpr54_vgpr55
                                        ; implicit-def: $vgpr58_vgpr59
                                        ; implicit-def: $vgpr62_vgpr63
	s_and_saveexec_b32 s1, s0
	s_cbranch_execz .LBB0_15
; %bb.14:
	ds_read_b128 v[52:55], v68 offset:15600
	ds_read_b128 v[56:59], v68 offset:23712
	ds_read_b128 v[0:3], v71
	ds_read_b128 v[60:63], v68 offset:31824
.LBB0_15:
	s_or_b32 exec_lo, exec_lo, s1
	v_mov_b32_e32 v73, 0x4ec5
	v_and_b32_e32 v72, 0xff, v84
	v_mov_b32_e32 v92, 3
	v_mul_u32_u24_sdwa v74, v85, v73 dst_sel:DWORD dst_unused:UNUSED_PAD src0_sel:WORD_0 src1_sel:DWORD
	v_mul_lo_u16 v72, 0x4f, v72
	v_mul_u32_u24_sdwa v75, v86, v73 dst_sel:DWORD dst_unused:UNUSED_PAD src0_sel:WORD_0 src1_sel:DWORD
	v_mul_u32_u24_sdwa v73, v87, v73 dst_sel:DWORD dst_unused:UNUSED_PAD src0_sel:WORD_0 src1_sel:DWORD
	v_lshrrev_b32_e32 v153, 18, v74
	v_lshrrev_b16 v83, 10, v72
	v_lshrrev_b32_e32 v154, 18, v75
	v_lshrrev_b32_e32 v73, 18, v73
	v_mul_lo_u16 v74, v153, 13
	v_mul_lo_u16 v76, v83, 13
	;; [unrolled: 1-line block ×3, first 2 shown]
	v_sub_nc_u16 v156, v85, v74
	v_mul_lo_u16 v74, v73, 13
	v_sub_nc_u16 v155, v84, v76
	v_sub_nc_u16 v157, v86, v75
	v_mul_u32_u24_sdwa v79, v156, v92 dst_sel:DWORD dst_unused:UNUSED_PAD src0_sel:WORD_0 src1_sel:DWORD
	v_sub_nc_u16 v74, v87, v74
	v_mul_u32_u24_sdwa v76, v155, v92 dst_sel:DWORD dst_unused:UNUSED_PAD src0_sel:BYTE_0 src1_sel:DWORD
	v_mul_u32_u24_sdwa v96, v157, v92 dst_sel:DWORD dst_unused:UNUSED_PAD src0_sel:WORD_0 src1_sel:DWORD
	v_lshlrev_b32_e32 v100, 4, v79
	v_mul_u32_u24_sdwa v108, v74, v92 dst_sel:DWORD dst_unused:UNUSED_PAD src0_sel:WORD_0 src1_sel:DWORD
	v_lshlrev_b32_e32 v88, 4, v76
	v_lshlrev_b32_e32 v112, 4, v96
	v_lshlrev_b32_e32 v124, 4, v108
	s_clause 0xb
	global_load_dwordx4 v[75:78], v88, s[12:13]
	global_load_dwordx4 v[79:82], v88, s[12:13] offset:16
	global_load_dwordx4 v[88:91], v88, s[12:13] offset:32
	global_load_dwordx4 v[92:95], v100, s[12:13]
	global_load_dwordx4 v[96:99], v100, s[12:13] offset:16
	global_load_dwordx4 v[100:103], v100, s[12:13] offset:32
	;; [unrolled: 3-line block ×4, first 2 shown]
	s_waitcnt vmcnt(0) lgkmcnt(0)
	s_barrier
	buffer_gl0_inv
	v_mul_f64 v[130:131], v[34:35], v[81:82]
	v_mul_f64 v[128:129], v[46:47], v[77:78]
	;; [unrolled: 1-line block ×24, first 2 shown]
	v_fma_f64 v[44:45], v[44:45], v[75:76], v[128:129]
	v_fma_f64 v[46:47], v[46:47], v[75:76], -v[77:78]
	v_fma_f64 v[32:33], v[32:33], v[79:80], v[130:131]
	v_fma_f64 v[34:35], v[34:35], v[79:80], -v[81:82]
	;; [unrolled: 2-line block ×12, first 2 shown]
	v_add_f64 v[75:76], v[8:9], -v[32:33]
	v_add_f64 v[77:78], v[10:11], -v[34:35]
	;; [unrolled: 1-line block ×4, first 2 shown]
	v_mul_u32_u24_e32 v96, 0x340, v153
	v_mul_u32_u24_e32 v97, 0x340, v154
	v_add_f64 v[48:49], v[12:13], -v[16:17]
	v_add_f64 v[50:51], v[14:15], -v[18:19]
	;; [unrolled: 1-line block ×4, first 2 shown]
	v_mov_b32_e32 v16, 4
	v_add_f64 v[79:80], v[4:5], -v[24:25]
	v_add_f64 v[81:82], v[6:7], -v[26:27]
	;; [unrolled: 1-line block ×4, first 2 shown]
	v_lshlrev_b32_sdwa v98, v16, v155 dst_sel:DWORD dst_unused:UNUSED_PAD src0_sel:DWORD src1_sel:BYTE_0
	v_lshlrev_b32_sdwa v99, v16, v156 dst_sel:DWORD dst_unused:UNUSED_PAD src0_sel:DWORD src1_sel:WORD_0
	v_add_f64 v[88:89], v[0:1], -v[56:57]
	v_add_f64 v[90:91], v[2:3], -v[58:59]
	;; [unrolled: 1-line block ×4, first 2 shown]
	v_fma_f64 v[8:9], v[8:9], 2.0, -v[75:76]
	v_fma_f64 v[10:11], v[10:11], 2.0, -v[77:78]
	;; [unrolled: 1-line block ×4, first 2 shown]
	v_add_f64 v[17:18], v[75:76], v[34:35]
	v_fma_f64 v[60:61], v[12:13], 2.0, -v[48:49]
	v_fma_f64 v[62:63], v[14:15], 2.0, -v[50:51]
	;; [unrolled: 1-line block ×8, first 2 shown]
	v_add_f64 v[19:20], v[77:78], -v[32:33]
	v_add_f64 v[21:22], v[48:49], v[42:43]
	v_fma_f64 v[92:93], v[0:1], 2.0, -v[88:89]
	v_fma_f64 v[94:95], v[2:3], 2.0, -v[90:91]
	;; [unrolled: 1-line block ×4, first 2 shown]
	v_add_f64 v[23:24], v[50:51], -v[40:41]
	v_add_f64 v[25:26], v[79:80], v[25:26]
	v_add_f64 v[29:30], v[8:9], -v[29:30]
	v_add_f64 v[31:32], v[10:11], -v[44:45]
	v_add_f64 v[27:28], v[81:82], -v[27:28]
	v_mov_b32_e32 v52, 0x340
	v_fma_f64 v[41:42], v[75:76], 2.0, -v[17:18]
	v_add_f64 v[33:34], v[60:61], -v[12:13]
	v_add_f64 v[35:36], v[62:63], -v[14:15]
	v_add_f64 v[12:13], v[88:89], v[58:59]
	v_add_f64 v[14:15], v[90:91], -v[56:57]
	v_mul_u32_u24_sdwa v83, v83, v52 dst_sel:DWORD dst_unused:UNUSED_PAD src0_sel:WORD_0 src1_sel:DWORD
	v_add_f64 v[37:38], v[4:5], -v[37:38]
	v_add_f64 v[39:40], v[6:7], -v[46:47]
	v_fma_f64 v[43:44], v[77:78], 2.0, -v[19:20]
	v_fma_f64 v[45:46], v[48:49], 2.0, -v[21:22]
	v_add_f64 v[0:1], v[92:93], -v[0:1]
	v_add_f64 v[2:3], v[94:95], -v[2:3]
	v_fma_f64 v[47:48], v[50:51], 2.0, -v[23:24]
	v_fma_f64 v[57:58], v[79:80], 2.0, -v[25:26]
	v_fma_f64 v[49:50], v[8:9], 2.0, -v[29:30]
	v_fma_f64 v[51:52], v[10:11], 2.0, -v[31:32]
	v_fma_f64 v[53:54], v[60:61], 2.0, -v[33:34]
	v_fma_f64 v[55:56], v[62:63], 2.0, -v[35:36]
	v_fma_f64 v[8:9], v[88:89], 2.0, -v[12:13]
	v_fma_f64 v[10:11], v[90:91], 2.0, -v[14:15]
	v_fma_f64 v[59:60], v[81:82], 2.0, -v[27:28]
	v_lshlrev_b32_sdwa v61, v16, v157 dst_sel:DWORD dst_unused:UNUSED_PAD src0_sel:DWORD src1_sel:WORD_0
	v_fma_f64 v[75:76], v[4:5], 2.0, -v[37:38]
	v_fma_f64 v[77:78], v[6:7], 2.0, -v[39:40]
	v_add3_u32 v62, 0, v83, v98
	v_add3_u32 v63, 0, v96, v99
	;; [unrolled: 1-line block ×3, first 2 shown]
	ds_write_b128 v62, v[17:20] offset:624
	ds_write_b128 v62, v[41:44] offset:208
	;; [unrolled: 1-line block ×3, first 2 shown]
	ds_write_b128 v62, v[49:52]
	ds_write_b128 v63, v[53:56]
	ds_write_b128 v63, v[45:48] offset:208
	ds_write_b128 v63, v[33:36] offset:416
	;; [unrolled: 1-line block ×3, first 2 shown]
	ds_write_b128 v61, v[75:78]
	ds_write_b128 v61, v[57:60] offset:208
	ds_write_b128 v61, v[37:40] offset:416
	;; [unrolled: 1-line block ×3, first 2 shown]
	v_fma_f64 v[4:5], v[92:93], 2.0, -v[0:1]
	v_fma_f64 v[6:7], v[94:95], 2.0, -v[2:3]
	s_and_saveexec_b32 s1, s0
	s_cbranch_execz .LBB0_17
; %bb.16:
	v_mul_lo_u16 v17, v73, 52
	v_lshlrev_b32_sdwa v18, v16, v74 dst_sel:DWORD dst_unused:UNUSED_PAD src0_sel:DWORD src1_sel:WORD_0
	v_lshlrev_b32_sdwa v16, v16, v17 dst_sel:DWORD dst_unused:UNUSED_PAD src0_sel:DWORD src1_sel:WORD_0
	v_add3_u32 v16, 0, v18, v16
	ds_write_b128 v16, v[4:7]
	ds_write_b128 v16, v[8:11] offset:208
	ds_write_b128 v16, v[0:3] offset:416
	;; [unrolled: 1-line block ×3, first 2 shown]
.LBB0_17:
	s_or_b32 exec_lo, exec_lo, s1
	s_waitcnt lgkmcnt(0)
	s_barrier
	buffer_gl0_inv
	ds_read_b128 v[16:19], v68
	ds_read_b128 v[40:43], v68 offset:10816
	ds_read_b128 v[32:35], v68 offset:13312
	;; [unrolled: 1-line block ×5, first 2 shown]
	ds_read_b128 v[20:23], v70
	ds_read_b128 v[12:15], v71
	ds_read_b128 v[56:59], v68 offset:21632
	ds_read_b128 v[44:47], v68 offset:18304
	ds_read_b128 v[24:27], v69
	ds_read_b128 v[48:51], v68 offset:29120
	v_cmp_gt_u32_e64 s0, 52, v84
	v_lshl_add_u32 v60, v84, 4, 0
	s_and_saveexec_b32 s1, s0
	s_cbranch_execz .LBB0_19
; %bb.18:
	ds_read_b128 v[4:7], v60 offset:9984
	ds_read_b128 v[8:11], v68 offset:20800
	;; [unrolled: 1-line block ×3, first 2 shown]
.LBB0_19:
	s_or_b32 exec_lo, exec_lo, s1
	v_mov_b32_e32 v61, 0x4ec5
	v_lshrrev_b16 v119, 12, v72
	v_mov_b32_e32 v89, 5
	s_mov_b32 s6, 0xe8584caa
	s_mov_b32 s7, 0xbfebb67a
	v_mul_u32_u24_sdwa v62, v85, v61 dst_sel:DWORD dst_unused:UNUSED_PAD src0_sel:WORD_0 src1_sel:DWORD
	v_mul_u32_u24_sdwa v63, v86, v61 dst_sel:DWORD dst_unused:UNUSED_PAD src0_sel:WORD_0 src1_sel:DWORD
	v_mul_u32_u24_sdwa v72, v87, v61 dst_sel:DWORD dst_unused:UNUSED_PAD src0_sel:WORD_0 src1_sel:DWORD
	s_mov_b32 s9, 0x3febb67a
	s_mov_b32 s8, s6
	v_lshrrev_b32_e32 v120, 20, v62
	v_mul_lo_u16 v62, v119, 52
	v_lshrrev_b32_e32 v121, 20, v63
	v_lshrrev_b32_e32 v123, 20, v72
	v_mul_lo_u16 v63, v120, 52
	v_sub_nc_u16 v122, v84, v62
	v_mul_lo_u16 v62, v121, 52
	v_mul_lo_u16 v80, v123, 52
	v_sub_nc_u16 v124, v85, v63
	v_lshlrev_b32_sdwa v63, v89, v122 dst_sel:DWORD dst_unused:UNUSED_PAD src0_sel:DWORD src1_sel:BYTE_0
	v_sub_nc_u16 v125, v86, v62
	v_sub_nc_u16 v126, v87, v80
	s_clause 0x1
	global_load_dwordx4 v[72:75], v63, s[12:13] offset:624
	global_load_dwordx4 v[76:79], v63, s[12:13] offset:640
	v_lshlrev_b32_sdwa v62, v89, v124 dst_sel:DWORD dst_unused:UNUSED_PAD src0_sel:DWORD src1_sel:WORD_0
	v_lshlrev_b32_sdwa v63, v89, v125 dst_sel:DWORD dst_unused:UNUSED_PAD src0_sel:DWORD src1_sel:WORD_0
	s_clause 0x1
	global_load_dwordx4 v[80:83], v62, s[12:13] offset:624
	global_load_dwordx4 v[85:88], v62, s[12:13] offset:640
	v_lshlrev_b32_sdwa v62, v89, v126 dst_sel:DWORD dst_unused:UNUSED_PAD src0_sel:DWORD src1_sel:WORD_0
	s_clause 0x3
	global_load_dwordx4 v[89:92], v63, s[12:13] offset:624
	global_load_dwordx4 v[93:96], v63, s[12:13] offset:640
	;; [unrolled: 1-line block ×4, first 2 shown]
	s_waitcnt vmcnt(0) lgkmcnt(0)
	s_barrier
	buffer_gl0_inv
	v_mul_f64 v[62:63], v[42:43], v[74:75]
	v_mul_f64 v[105:106], v[58:59], v[78:79]
	;; [unrolled: 1-line block ×16, first 2 shown]
	v_fma_f64 v[40:41], v[40:41], v[72:73], v[62:63]
	v_fma_f64 v[56:57], v[56:57], v[76:77], v[105:106]
	v_fma_f64 v[42:43], v[42:43], v[72:73], -v[74:75]
	v_fma_f64 v[58:59], v[58:59], v[76:77], -v[78:79]
	v_mov_b32_e32 v62, 0x9c0
	v_fma_f64 v[32:33], v[32:33], v[80:81], v[107:108]
	v_fma_f64 v[52:53], v[52:53], v[85:86], v[109:110]
	v_fma_f64 v[34:35], v[34:35], v[80:81], -v[82:83]
	v_fma_f64 v[54:55], v[54:55], v[85:86], -v[87:88]
	v_fma_f64 v[28:29], v[28:29], v[89:90], v[111:112]
	v_fma_f64 v[36:37], v[36:37], v[93:94], v[113:114]
	v_fma_f64 v[30:31], v[30:31], v[89:90], -v[91:92]
	v_fma_f64 v[38:39], v[38:39], v[93:94], -v[95:96]
	;; [unrolled: 4-line block ×3, first 2 shown]
	v_mul_u32_u24_sdwa v114, v119, v62 dst_sel:DWORD dst_unused:UNUSED_PAD src0_sel:WORD_0 src1_sel:DWORD
	v_mov_b32_e32 v113, 4
	v_mul_u32_u24_e32 v116, 0x9c0, v120
	v_mul_u32_u24_e32 v117, 0x9c0, v121
	v_add_f64 v[80:81], v[16:17], v[40:41]
	v_add_f64 v[62:63], v[40:41], v[56:57]
	v_add_f64 v[40:41], v[40:41], -v[56:57]
	v_add_f64 v[72:73], v[42:43], v[58:59]
	v_add_f64 v[85:86], v[42:43], -v[58:59]
	v_add_f64 v[42:43], v[18:19], v[42:43]
	v_add_f64 v[91:92], v[24:25], v[32:33]
	;; [unrolled: 1-line block ×5, first 2 shown]
	v_add_f64 v[103:104], v[34:35], -v[54:55]
	v_add_f64 v[78:79], v[28:29], v[36:37]
	v_add_f64 v[95:96], v[20:21], v[28:29]
	;; [unrolled: 1-line block ×5, first 2 shown]
	v_add_f64 v[105:106], v[30:31], -v[38:39]
	v_add_f64 v[89:90], v[46:47], v[50:51]
	v_add_f64 v[107:108], v[28:29], -v[36:37]
	v_add_f64 v[99:100], v[12:13], v[44:45]
	v_add_f64 v[101:102], v[14:15], v[46:47]
	v_add_f64 v[109:110], v[46:47], -v[50:51]
	v_add_f64 v[111:112], v[44:45], -v[48:49]
	v_fma_f64 v[62:63], v[62:63], -0.5, v[16:17]
	v_lshlrev_b32_sdwa v115, v113, v122 dst_sel:DWORD dst_unused:UNUSED_PAD src0_sel:DWORD src1_sel:BYTE_0
	v_fma_f64 v[34:35], v[72:73], -0.5, v[18:19]
	v_add_f64 v[72:73], v[32:33], -v[52:53]
	v_mul_u32_u24_e32 v118, 0x9c0, v123
	v_add_f64 v[16:17], v[91:92], v[52:53]
	v_fma_f64 v[74:75], v[74:75], -0.5, v[24:25]
	v_add_f64 v[18:19], v[93:94], v[54:55]
	v_fma_f64 v[76:77], v[76:77], -0.5, v[26:27]
	v_fma_f64 v[78:79], v[78:79], -0.5, v[20:21]
	v_add_f64 v[20:21], v[95:96], v[36:37]
	v_fma_f64 v[82:83], v[82:83], -0.5, v[22:23]
	v_add_f64 v[22:23], v[97:98], v[38:39]
	;; [unrolled: 2-line block ×4, first 2 shown]
	v_add_f64 v[24:25], v[99:100], v[48:49]
	v_add_f64 v[26:27], v[101:102], v[50:51]
	v_fma_f64 v[28:29], v[85:86], s[6:7], v[62:63]
	v_fma_f64 v[32:33], v[85:86], s[8:9], v[62:63]
	;; [unrolled: 1-line block ×4, first 2 shown]
	v_lshlrev_b32_sdwa v63, v113, v124 dst_sel:DWORD dst_unused:UNUSED_PAD src0_sel:DWORD src1_sel:WORD_0
	v_add3_u32 v62, 0, v114, v115
	v_fma_f64 v[36:37], v[103:104], s[6:7], v[74:75]
	v_fma_f64 v[40:41], v[103:104], s[8:9], v[74:75]
	;; [unrolled: 1-line block ×12, first 2 shown]
	v_lshlrev_b32_sdwa v72, v113, v125 dst_sel:DWORD dst_unused:UNUSED_PAD src0_sel:DWORD src1_sel:WORD_0
	v_lshlrev_b32_sdwa v73, v113, v126 dst_sel:DWORD dst_unused:UNUSED_PAD src0_sel:DWORD src1_sel:WORD_0
	v_add3_u32 v63, 0, v116, v63
	v_add3_u32 v72, 0, v117, v72
	;; [unrolled: 1-line block ×3, first 2 shown]
	ds_write_b128 v62, v[12:15]
	ds_write_b128 v62, v[28:31] offset:832
	ds_write_b128 v62, v[32:35] offset:1664
	ds_write_b128 v63, v[16:19]
	ds_write_b128 v63, v[36:39] offset:832
	ds_write_b128 v63, v[40:43] offset:1664
	;; [unrolled: 3-line block ×4, first 2 shown]
	s_and_saveexec_b32 s1, s0
	s_cbranch_execz .LBB0_21
; %bb.20:
	v_add_nc_u32_e32 v12, 0x270, v84
	v_mul_u32_u24_sdwa v13, v12, v61 dst_sel:DWORD dst_unused:UNUSED_PAD src0_sel:WORD_0 src1_sel:DWORD
	v_lshrrev_b32_e32 v13, 20, v13
	v_mul_lo_u16 v13, v13, 52
	v_sub_nc_u16 v12, v12, v13
	v_and_b32_e32 v24, 0xffff, v12
	v_lshlrev_b32_e32 v16, 5, v24
	s_clause 0x1
	global_load_dwordx4 v[12:15], v16, s[12:13] offset:624
	global_load_dwordx4 v[16:19], v16, s[12:13] offset:640
	s_waitcnt vmcnt(1)
	v_mul_f64 v[20:21], v[8:9], v[14:15]
	s_waitcnt vmcnt(0)
	v_mul_f64 v[22:23], v[0:1], v[18:19]
	v_mul_f64 v[14:15], v[10:11], v[14:15]
	;; [unrolled: 1-line block ×3, first 2 shown]
	v_fma_f64 v[10:11], v[10:11], v[12:13], -v[20:21]
	v_fma_f64 v[2:3], v[2:3], v[16:17], -v[22:23]
	v_fma_f64 v[8:9], v[8:9], v[12:13], v[14:15]
	v_fma_f64 v[0:1], v[0:1], v[16:17], v[18:19]
	v_add_f64 v[18:19], v[6:7], v[10:11]
	v_add_f64 v[12:13], v[10:11], v[2:3]
	v_add_f64 v[20:21], v[10:11], -v[2:3]
	v_add_f64 v[14:15], v[8:9], v[0:1]
	v_add_f64 v[16:17], v[8:9], -v[0:1]
	v_add_f64 v[8:9], v[4:5], v[8:9]
	v_add_f64 v[2:3], v[18:19], v[2:3]
	v_fma_f64 v[12:13], v[12:13], -0.5, v[6:7]
	v_fma_f64 v[4:5], v[14:15], -0.5, v[4:5]
	v_add_f64 v[0:1], v[8:9], v[0:1]
	v_fma_f64 v[10:11], v[16:17], s[8:9], v[12:13]
	v_fma_f64 v[6:7], v[16:17], s[6:7], v[12:13]
	v_fma_f64 v[8:9], v[20:21], s[6:7], v[4:5]
	v_fma_f64 v[4:5], v[20:21], s[8:9], v[4:5]
	v_lshl_add_u32 v12, v24, 4, 0
	ds_write_b128 v12, v[0:3] offset:29952
	ds_write_b128 v12, v[8:11] offset:30784
	;; [unrolled: 1-line block ×3, first 2 shown]
.LBB0_21:
	s_or_b32 exec_lo, exec_lo, s1
	s_waitcnt lgkmcnt(0)
	s_barrier
	buffer_gl0_inv
	s_and_saveexec_b32 s0, vcc_lo
	s_cbranch_execz .LBB0_23
; %bb.22:
	v_mul_u32_u24_e32 v0, 12, v84
	s_mov_b32 s14, 0x42a4c3d2
	s_mov_b32 s15, 0x3fea55e2
	;; [unrolled: 1-line block ×4, first 2 shown]
	v_lshlrev_b32_e32 v0, 4, v0
	s_mov_b32 s6, 0x1ea71119
	s_mov_b32 s7, 0x3fe22d96
	;; [unrolled: 1-line block ×4, first 2 shown]
	v_add_co_u32 v42, s0, s12, v0
	v_add_co_ci_u32_e64 v43, null, s13, 0, s0
	s_mov_b32 s0, 0xe00740e9
	v_add_co_u32 v8, vcc_lo, 0x930, v42
	v_add_co_ci_u32_e32 v9, vcc_lo, 0, v43, vcc_lo
	v_add_co_u32 v32, vcc_lo, 0x800, v42
	v_add_co_ci_u32_e32 v33, vcc_lo, 0, v43, vcc_lo
	s_clause 0x1
	global_load_dwordx4 v[16:19], v[8:9], off offset:16
	global_load_dwordx4 v[0:3], v[8:9], off offset:32
	v_add_co_u32 v34, vcc_lo, 0x8f0, v42
	s_clause 0x1
	global_load_dwordx4 v[4:7], v[32:33], off offset:304
	global_load_dwordx4 v[8:11], v[8:9], off offset:48
	v_add_co_ci_u32_e32 v35, vcc_lo, 0, v43, vcc_lo
	s_clause 0x1
	global_load_dwordx4 v[12:15], v[34:35], off offset:48
	global_load_dwordx4 v[20:23], v[32:33], off offset:368
	ds_read_b128 v[44:47], v68 offset:14976
	ds_read_b128 v[28:31], v68 offset:17472
	;; [unrolled: 1-line block ×3, first 2 shown]
	s_mov_b32 s1, 0x3fec55a7
	s_mov_b32 s27, 0xbfefc445
	;; [unrolled: 1-line block ×11, first 2 shown]
	v_add_nc_u32_e32 v74, 0x9c, v146
	s_mov_b32 s29, 0x3fe5384d
	s_mov_b32 s28, s20
	v_add_nc_u32_e32 v90, 0x138, v146
	s_mov_b32 s31, 0x3fedeba7
	s_mov_b32 s30, s18
	v_add_nc_u32_e32 v114, 0x1d4, v146
	v_add_nc_u32_e32 v136, 0x270, v146
	;; [unrolled: 1-line block ×3, first 2 shown]
	s_waitcnt vmcnt(5) lgkmcnt(2)
	v_mul_f64 v[36:37], v[18:19], v[46:47]
	v_mul_f64 v[18:19], v[44:45], v[18:19]
	s_waitcnt vmcnt(4) lgkmcnt(1)
	v_mul_f64 v[38:39], v[2:3], v[30:31]
	v_mul_f64 v[40:41], v[28:29], v[2:3]
	v_fma_f64 v[36:37], v[16:17], v[44:45], v[36:37]
	v_fma_f64 v[2:3], v[16:17], v[46:47], -v[18:19]
	ds_read_b128 v[16:19], v68
	v_fma_f64 v[46:47], v[0:1], v[28:29], v[38:39]
	v_fma_f64 v[48:49], v[0:1], v[30:31], -v[40:41]
	ds_read_b128 v[28:31], v68 offset:19968
	ds_read_b128 v[38:41], v68 offset:22464
	s_waitcnt vmcnt(3) lgkmcnt(3)
	v_mul_f64 v[44:45], v[6:7], v[26:27]
	v_mul_f64 v[6:7], v[24:25], v[6:7]
	s_waitcnt vmcnt(2) lgkmcnt(1)
	v_mul_f64 v[0:1], v[10:11], v[30:31]
	v_mul_f64 v[10:11], v[28:29], v[10:11]
	v_add_f64 v[153:154], v[36:37], -v[46:47]
	v_add_f64 v[155:156], v[2:3], -v[48:49]
	v_fma_f64 v[44:45], v[4:5], v[24:25], v[44:45]
	v_fma_f64 v[50:51], v[4:5], v[26:27], -v[6:7]
	global_load_dwordx4 v[4:7], v[32:33], off offset:240
	ds_read_b128 v[24:27], v71
	v_fma_f64 v[32:33], v[8:9], v[28:29], v[0:1]
	v_fma_f64 v[52:53], v[8:9], v[30:31], -v[10:11]
	ds_read_b128 v[8:11], v60 offset:9984
	v_add_co_u32 v0, vcc_lo, 0x970, v42
	v_add_co_ci_u32_e32 v1, vcc_lo, 0, v43, vcc_lo
	global_load_dwordx4 v[28:31], v[0:1], off offset:16
	s_waitcnt vmcnt(3) lgkmcnt(0)
	v_mul_f64 v[42:43], v[14:15], v[10:11]
	v_add_f64 v[157:158], v[44:45], -v[32:33]
	v_add_f64 v[159:160], v[50:51], -v[52:53]
	v_fma_f64 v[42:43], v[12:13], v[8:9], v[42:43]
	v_mul_f64 v[8:9], v[8:9], v[14:15]
	v_fma_f64 v[54:55], v[12:13], v[10:11], -v[8:9]
	s_waitcnt vmcnt(2)
	v_mul_f64 v[8:9], v[22:23], v[40:41]
	v_mul_f64 v[10:11], v[38:39], v[22:23]
	v_fma_f64 v[38:39], v[20:21], v[38:39], v[8:9]
	v_fma_f64 v[40:41], v[20:21], v[40:41], -v[10:11]
	s_clause 0x1
	global_load_dwordx4 v[8:11], v[34:35], off offset:32
	global_load_dwordx4 v[12:15], v[34:35], off offset:16
	v_add_f64 v[161:162], v[42:43], -v[38:39]
	v_add_f64 v[163:164], v[54:55], -v[40:41]
	v_mul_f64 v[118:119], v[161:162], s[26:27]
	v_mul_f64 v[116:117], v[163:164], s[26:27]
	s_waitcnt vmcnt(1)
	v_mul_f64 v[20:21], v[10:11], v[26:27]
	v_mul_f64 v[10:11], v[24:25], v[10:11]
	v_fma_f64 v[34:35], v[8:9], v[24:25], v[20:21]
	v_fma_f64 v[56:57], v[8:9], v[26:27], -v[10:11]
	ds_read_b128 v[8:11], v68 offset:24960
	ds_read_b128 v[20:23], v68 offset:27456
	s_waitcnt lgkmcnt(1)
	v_mul_f64 v[24:25], v[30:31], v[10:11]
	v_fma_f64 v[24:25], v[28:29], v[8:9], v[24:25]
	v_mul_f64 v[8:9], v[8:9], v[30:31]
	v_add_f64 v[165:166], v[34:35], -v[24:25]
	v_fma_f64 v[28:29], v[28:29], v[10:11], -v[8:9]
	ds_read_b128 v[8:11], v70
	s_waitcnt vmcnt(0) lgkmcnt(0)
	v_mul_f64 v[26:27], v[14:15], v[10:11]
	v_add_f64 v[167:168], v[56:57], -v[28:29]
	v_mul_f64 v[78:79], v[165:166], s[24:25]
	v_mul_f64 v[98:99], v[165:166], s[30:31]
	v_fma_f64 v[30:31], v[12:13], v[8:9], v[26:27]
	v_mul_f64 v[8:9], v[8:9], v[14:15]
	v_add_f64 v[26:27], v[56:57], v[28:29]
	v_mul_f64 v[76:77], v[167:168], s[24:25]
	v_mul_f64 v[96:97], v[167:168], s[30:31]
	v_fma_f64 v[58:59], v[12:13], v[10:11], -v[8:9]
	s_clause 0x1
	global_load_dwordx4 v[8:11], v[0:1], off offset:32
	global_load_dwordx4 v[12:15], v[0:1], off offset:48
	s_waitcnt vmcnt(1)
	v_mul_f64 v[0:1], v[10:11], v[22:23]
	v_fma_f64 v[60:61], v[8:9], v[20:21], v[0:1]
	v_mul_f64 v[0:1], v[20:21], v[10:11]
	v_add_f64 v[130:131], v[30:31], -v[60:61]
	v_fma_f64 v[62:63], v[8:9], v[22:23], -v[0:1]
	ds_read_b128 v[8:11], v69
	ds_read_b128 v[20:23], v68 offset:29952
	s_waitcnt lgkmcnt(1)
	v_mul_f64 v[0:1], v[6:7], v[10:11]
	v_mul_f64 v[80:81], v[130:131], s[18:19]
	v_add_f64 v[132:133], v[58:59], -v[62:63]
	v_mul_f64 v[94:95], v[130:131], s[24:25]
	v_mul_f64 v[120:121], v[130:131], s[28:29]
	v_fma_f64 v[68:69], v[4:5], v[8:9], v[0:1]
	v_mul_f64 v[0:1], v[8:9], v[6:7]
	v_mul_f64 v[82:83], v[132:133], s[18:19]
	;; [unrolled: 1-line block ×4, first 2 shown]
	v_add_f64 v[6:7], v[68:69], v[16:17]
	v_fma_f64 v[8:9], v[4:5], v[10:11], -v[0:1]
	s_waitcnt vmcnt(0) lgkmcnt(0)
	v_mul_f64 v[0:1], v[14:15], v[22:23]
	v_mul_lo_u32 v4, s5, v66
	v_mul_lo_u32 v5, s4, v67
	v_mad_u64_u32 v[10:11], null, s2, v146, 0
	s_mov_b32 s5, 0x3fddbe06
	v_add_f64 v[6:7], v[30:31], v[6:7]
	v_fma_f64 v[70:71], v[12:13], v[20:21], v[0:1]
	v_mul_f64 v[0:1], v[20:21], v[14:15]
	v_add_f64 v[20:21], v[54:55], v[40:41]
	v_add_f64 v[6:7], v[34:35], v[6:7]
	v_add_f64 v[169:170], v[68:69], -v[70:71]
	v_fma_f64 v[12:13], v[12:13], v[22:23], -v[0:1]
	v_mad_u64_u32 v[0:1], null, s4, v66, 0
	s_mov_b32 s4, 0x4267c47c
	v_mul_f64 v[173:174], v[130:131], s[4:5]
	v_mul_f64 v[175:176], v[132:133], s[4:5]
	v_add3_u32 v1, v1, v5, v4
	v_mov_b32_e32 v4, v11
	v_lshlrev_b64 v[0:1], 4, v[0:1]
	v_mad_u64_u32 v[4:5], null, s3, v146, v[4:5]
	v_add_f64 v[6:7], v[42:43], v[6:7]
	v_mul_f64 v[102:103], v[169:170], s[22:23]
	v_add_f64 v[171:172], v[8:9], -v[12:13]
	v_mov_b32_e32 v11, v4
	v_add_f64 v[4:5], v[18:19], v[8:9]
	v_mul_f64 v[106:107], v[169:170], s[26:27]
	v_mul_f64 v[144:145], v[169:170], s[18:19]
	;; [unrolled: 1-line block ×3, first 2 shown]
	v_add_f64 v[6:7], v[44:45], v[6:7]
	v_mul_f64 v[92:93], v[171:172], s[22:23]
	v_mul_f64 v[104:105], v[171:172], s[26:27]
	v_add_f64 v[4:5], v[58:59], v[4:5]
	v_mul_f64 v[124:125], v[171:172], s[18:19]
	v_mul_f64 v[142:143], v[171:172], s[20:21]
	v_add_f64 v[6:7], v[36:37], v[6:7]
	v_add_f64 v[4:5], v[56:57], v[4:5]
	v_mul_f64 v[56:57], v[159:160], s[4:5]
	v_add_f64 v[6:7], v[46:47], v[6:7]
	v_add_f64 v[4:5], v[54:55], v[4:5]
	v_mul_f64 v[54:55], v[165:166], s[26:27]
	v_add_f64 v[6:7], v[32:33], v[6:7]
	v_add_f64 v[4:5], v[50:51], v[4:5]
	v_add_f64 v[6:7], v[38:39], v[6:7]
	v_add_f64 v[4:5], v[2:3], v[4:5]
	;; [unrolled: 1-line block ×8, first 2 shown]
	v_mul_f64 v[40:41], v[165:166], s[4:5]
	v_add_f64 v[4:5], v[28:29], v[4:5]
	v_mul_f64 v[28:29], v[163:164], s[4:5]
	v_add_f64 v[4:5], v[62:63], v[4:5]
	v_add_f64 v[6:7], v[12:13], v[4:5]
	;; [unrolled: 1-line block ×3, first 2 shown]
	v_add_co_u32 v14, vcc_lo, s10, v0
	v_add_co_ci_u32_e32 v15, vcc_lo, s11, v1, vcc_lo
	v_lshlrev_b64 v[0:1], 4, v[64:65]
	s_mov_b32 s10, 0xebaa3ed8
	s_mov_b32 s11, 0x3fbedb7d
	v_add_co_u32 v147, vcc_lo, v14, v0
	v_add_co_ci_u32_e32 v148, vcc_lo, v15, v1, vcc_lo
	v_lshlrev_b64 v[0:1], 4, v[10:11]
	v_add_f64 v[14:15], v[42:43], v[38:39]
	v_mul_f64 v[38:39], v[167:168], s[4:5]
	v_add_f64 v[10:11], v[50:51], v[52:53]
	v_mul_f64 v[52:53], v[132:133], s[22:23]
	v_mul_f64 v[50:51], v[167:168], s[26:27]
	v_add_co_u32 v0, vcc_lo, v147, v0
	v_add_co_ci_u32_e32 v1, vcc_lo, v148, v1, vcc_lo
	v_mul_f64 v[42:43], v[157:158], s[20:21]
	s_mov_b32 s27, 0x3fcea1e5
	s_mov_b32 s26, s24
	global_store_dwordx4 v[0:1], v[4:7], off
	v_add_f64 v[0:1], v[36:37], v[46:47]
	v_add_f64 v[4:5], v[2:3], v[48:49]
	v_add_f64 v[2:3], v[44:45], v[32:33]
	v_add_f64 v[32:33], v[58:59], v[62:63]
	v_add_f64 v[36:37], v[30:31], v[60:61]
	v_add_f64 v[62:63], v[8:9], v[12:13]
	v_mul_f64 v[58:59], v[157:158], s[4:5]
	v_mul_f64 v[30:31], v[161:162], s[4:5]
	;; [unrolled: 1-line block ×4, first 2 shown]
	s_mov_b32 s5, 0xbfddbe06
	v_mul_f64 v[48:49], v[130:131], s[22:23]
	v_mul_f64 v[66:67], v[169:170], s[4:5]
	v_add_f64 v[60:61], v[68:69], v[70:71]
	v_mul_f64 v[68:69], v[171:172], s[4:5]
	v_mul_f64 v[46:47], v[161:162], s[18:19]
	;; [unrolled: 1-line block ×3, first 2 shown]
	s_mov_b32 s4, 0x93053d00
	s_mov_b32 s5, 0xbfef11f4
	v_mul_f64 v[169:170], v[169:170], s[24:25]
	v_mul_f64 v[171:172], v[171:172], s[24:25]
	v_fma_f64 v[34:35], v[36:37], s[6:7], v[52:53]
	v_fma_f64 v[22:23], v[32:33], s[6:7], -v[48:49]
	v_fma_f64 v[12:13], v[62:63], s[0:1], -v[66:67]
	v_add_f64 v[12:13], v[18:19], v[12:13]
	v_add_f64 v[12:13], v[22:23], v[12:13]
	v_fma_f64 v[22:23], v[60:61], s[0:1], v[68:69]
	v_add_f64 v[22:23], v[16:17], v[22:23]
	v_add_f64 v[22:23], v[34:35], v[22:23]
	v_fma_f64 v[34:35], v[26:27], s[10:11], -v[54:55]
	v_add_f64 v[12:13], v[34:35], v[12:13]
	v_fma_f64 v[34:35], v[24:25], s[10:11], v[50:51]
	v_add_f64 v[22:23], v[34:35], v[22:23]
	v_fma_f64 v[34:35], v[20:21], s[12:13], -v[46:47]
	v_add_f64 v[12:13], v[34:35], v[12:13]
	v_fma_f64 v[34:35], v[14:15], s[12:13], v[44:45]
	v_add_f64 v[22:23], v[34:35], v[22:23]
	v_fma_f64 v[34:35], v[10:11], s[8:9], -v[42:43]
	v_add_f64 v[12:13], v[34:35], v[12:13]
	v_mul_f64 v[34:35], v[159:160], s[20:21]
	v_fma_f64 v[64:65], v[2:3], s[8:9], v[34:35]
	v_fma_f64 v[34:35], v[2:3], s[8:9], -v[34:35]
	v_add_f64 v[64:65], v[64:65], v[22:23]
	v_mul_f64 v[22:23], v[153:154], s[24:25]
	v_fma_f64 v[70:71], v[4:5], s[4:5], -v[22:23]
	v_fma_f64 v[22:23], v[4:5], s[4:5], v[22:23]
	v_add_f64 v[72:73], v[70:71], v[12:13]
	v_mul_f64 v[12:13], v[155:156], s[24:25]
	v_fma_f64 v[70:71], v[0:1], s[4:5], v[12:13]
	v_fma_f64 v[12:13], v[0:1], s[4:5], -v[12:13]
	v_add_f64 v[70:71], v[70:71], v[64:65]
	v_mad_u64_u32 v[64:65], null, s2, v74, 0
	v_mad_u64_u32 v[74:75], null, s3, v74, v[65:66]
	v_mov_b32_e32 v65, v74
	v_mul_f64 v[74:75], v[161:162], s[28:29]
	v_lshlrev_b64 v[64:65], 4, v[64:65]
	v_add_co_u32 v64, vcc_lo, v147, v64
	v_add_co_ci_u32_e32 v65, vcc_lo, v148, v65, vcc_lo
	global_store_dwordx4 v[64:65], v[70:73], off
	v_fma_f64 v[64:65], v[62:63], s[6:7], -v[102:103]
	v_fma_f64 v[70:71], v[32:33], s[12:13], -v[80:81]
	v_fma_f64 v[72:73], v[36:37], s[12:13], v[82:83]
	v_fma_f64 v[102:103], v[62:63], s[6:7], v[102:103]
	;; [unrolled: 1-line block ×3, first 2 shown]
	v_fma_f64 v[82:83], v[36:37], s[12:13], -v[82:83]
	v_add_f64 v[64:65], v[18:19], v[64:65]
	v_add_f64 v[102:103], v[18:19], v[102:103]
	;; [unrolled: 1-line block ×3, first 2 shown]
	v_fma_f64 v[70:71], v[60:61], s[6:7], v[92:93]
	v_fma_f64 v[92:93], v[60:61], s[6:7], -v[92:93]
	v_add_f64 v[80:81], v[80:81], v[102:103]
	v_add_f64 v[70:71], v[16:17], v[70:71]
	;; [unrolled: 1-line block ×4, first 2 shown]
	v_fma_f64 v[72:73], v[26:27], s[4:5], -v[78:79]
	v_fma_f64 v[78:79], v[26:27], s[4:5], v[78:79]
	v_add_f64 v[82:83], v[82:83], v[92:93]
	v_add_f64 v[64:65], v[72:73], v[64:65]
	v_fma_f64 v[72:73], v[24:25], s[4:5], v[76:77]
	v_fma_f64 v[76:77], v[24:25], s[4:5], -v[76:77]
	v_add_f64 v[70:71], v[72:73], v[70:71]
	v_fma_f64 v[72:73], v[20:21], s[8:9], -v[74:75]
	v_add_f64 v[64:65], v[72:73], v[64:65]
	v_mul_f64 v[72:73], v[163:164], s[28:29]
	v_fma_f64 v[84:85], v[14:15], s[8:9], v[72:73]
	v_fma_f64 v[72:73], v[14:15], s[8:9], -v[72:73]
	v_add_f64 v[84:85], v[84:85], v[70:71]
	v_mul_f64 v[70:71], v[157:158], s[16:17]
	v_fma_f64 v[86:87], v[10:11], s[10:11], -v[70:71]
	v_add_f64 v[86:87], v[86:87], v[64:65]
	v_mul_f64 v[64:65], v[159:160], s[16:17]
	v_fma_f64 v[88:89], v[2:3], s[10:11], v[64:65]
	v_add_f64 v[84:85], v[88:89], v[84:85]
	v_fma_f64 v[88:89], v[4:5], s[0:1], -v[6:7]
	v_add_f64 v[86:87], v[88:89], v[86:87]
	v_fma_f64 v[88:89], v[0:1], s[0:1], v[8:9]
	v_fma_f64 v[8:9], v[0:1], s[0:1], -v[8:9]
	v_add_f64 v[84:85], v[88:89], v[84:85]
	v_mad_u64_u32 v[88:89], null, s2, v90, 0
	v_mad_u64_u32 v[89:90], null, s3, v90, v[89:90]
	v_mul_f64 v[90:91], v[157:158], s[22:23]
	v_lshlrev_b64 v[88:89], 4, v[88:89]
	v_add_co_u32 v88, vcc_lo, v147, v88
	v_add_co_ci_u32_e32 v89, vcc_lo, v148, v89, vcc_lo
	global_store_dwordx4 v[88:89], v[84:87], off
	v_fma_f64 v[84:85], v[62:63], s[10:11], -v[106:107]
	v_fma_f64 v[86:87], v[32:33], s[4:5], -v[94:95]
	v_fma_f64 v[88:89], v[36:37], s[4:5], v[100:101]
	v_fma_f64 v[106:107], v[62:63], s[10:11], v[106:107]
	v_add_f64 v[84:85], v[18:19], v[84:85]
	v_add_f64 v[106:107], v[18:19], v[106:107]
	;; [unrolled: 1-line block ×3, first 2 shown]
	v_fma_f64 v[86:87], v[60:61], s[10:11], v[104:105]
	v_fma_f64 v[104:105], v[60:61], s[10:11], -v[104:105]
	v_add_f64 v[86:87], v[16:17], v[86:87]
	v_add_f64 v[104:105], v[16:17], v[104:105]
	;; [unrolled: 1-line block ×3, first 2 shown]
	v_fma_f64 v[88:89], v[26:27], s[12:13], -v[98:99]
	v_add_f64 v[84:85], v[88:89], v[84:85]
	v_fma_f64 v[88:89], v[24:25], s[12:13], v[96:97]
	v_add_f64 v[86:87], v[88:89], v[86:87]
	v_fma_f64 v[88:89], v[20:21], s[0:1], -v[30:31]
	v_fma_f64 v[30:31], v[20:21], s[0:1], v[30:31]
	v_add_f64 v[84:85], v[88:89], v[84:85]
	v_fma_f64 v[88:89], v[14:15], s[0:1], v[28:29]
	v_fma_f64 v[28:29], v[14:15], s[0:1], -v[28:29]
	v_add_f64 v[86:87], v[88:89], v[86:87]
	v_fma_f64 v[88:89], v[10:11], s[6:7], -v[90:91]
	v_add_f64 v[84:85], v[88:89], v[84:85]
	v_mul_f64 v[88:89], v[159:160], s[22:23]
	v_fma_f64 v[108:109], v[2:3], s[6:7], v[88:89]
	v_add_f64 v[108:109], v[108:109], v[86:87]
	v_mul_f64 v[86:87], v[153:154], s[20:21]
	v_fma_f64 v[110:111], v[4:5], s[8:9], -v[86:87]
	v_add_f64 v[110:111], v[110:111], v[84:85]
	v_mul_f64 v[84:85], v[155:156], s[20:21]
	v_fma_f64 v[112:113], v[0:1], s[8:9], v[84:85]
	v_add_f64 v[108:109], v[112:113], v[108:109]
	v_mad_u64_u32 v[112:113], null, s2, v114, 0
	v_mad_u64_u32 v[113:114], null, s3, v114, v[113:114]
	v_mul_f64 v[114:115], v[157:158], s[26:27]
	v_mul_f64 v[157:158], v[157:158], s[18:19]
	v_lshlrev_b64 v[112:113], 4, v[112:113]
	v_add_co_u32 v112, vcc_lo, v147, v112
	v_add_co_ci_u32_e32 v113, vcc_lo, v148, v113, vcc_lo
	global_store_dwordx4 v[112:113], v[108:111], off
	v_fma_f64 v[108:109], v[62:63], s[12:13], -v[144:145]
	v_fma_f64 v[110:111], v[32:33], s[8:9], -v[120:121]
	v_fma_f64 v[112:113], v[36:37], s[8:9], v[122:123]
	v_fma_f64 v[144:145], v[62:63], s[12:13], v[144:145]
	v_add_f64 v[108:109], v[18:19], v[108:109]
	v_add_f64 v[108:109], v[110:111], v[108:109]
	v_fma_f64 v[110:111], v[60:61], s[12:13], v[124:125]
	v_fma_f64 v[124:125], v[60:61], s[12:13], -v[124:125]
	v_add_f64 v[110:111], v[16:17], v[110:111]
	v_add_f64 v[124:125], v[16:17], v[124:125]
	;; [unrolled: 1-line block ×3, first 2 shown]
	v_fma_f64 v[112:113], v[26:27], s[0:1], -v[40:41]
	v_fma_f64 v[40:41], v[26:27], s[0:1], v[40:41]
	v_add_f64 v[108:109], v[112:113], v[108:109]
	v_fma_f64 v[112:113], v[24:25], s[0:1], v[38:39]
	v_fma_f64 v[38:39], v[24:25], s[0:1], -v[38:39]
	v_add_f64 v[110:111], v[112:113], v[110:111]
	v_fma_f64 v[112:113], v[20:21], s[10:11], -v[118:119]
	v_add_f64 v[108:109], v[112:113], v[108:109]
	v_fma_f64 v[112:113], v[14:15], s[10:11], v[116:117]
	v_add_f64 v[110:111], v[112:113], v[110:111]
	v_fma_f64 v[112:113], v[10:11], s[4:5], -v[114:115]
	v_add_f64 v[126:127], v[112:113], v[108:109]
	v_mul_f64 v[112:113], v[159:160], s[26:27]
	v_mul_f64 v[159:160], v[159:160], s[18:19]
	v_fma_f64 v[108:109], v[2:3], s[4:5], v[112:113]
	v_add_f64 v[134:135], v[108:109], v[110:111]
	v_mul_f64 v[108:109], v[153:154], s[14:15]
	v_fma_f64 v[110:111], v[4:5], s[6:7], -v[108:109]
	v_add_f64 v[128:129], v[110:111], v[126:127]
	v_mul_f64 v[110:111], v[155:156], s[14:15]
	v_fma_f64 v[126:127], v[0:1], s[6:7], v[110:111]
	v_add_f64 v[126:127], v[126:127], v[134:135]
	v_mad_u64_u32 v[134:135], null, s2, v136, 0
	v_mad_u64_u32 v[135:136], null, s3, v136, v[135:136]
	v_lshlrev_b64 v[134:135], 4, v[134:135]
	v_add_co_u32 v134, vcc_lo, v147, v134
	v_add_co_ci_u32_e32 v135, vcc_lo, v148, v135, vcc_lo
	global_store_dwordx4 v[134:135], v[126:129], off
	v_mul_f64 v[126:127], v[130:131], s[16:17]
	v_fma_f64 v[128:129], v[62:63], s[8:9], -v[177:178]
	v_fma_f64 v[130:131], v[32:33], s[10:11], -v[126:127]
	v_add_f64 v[128:129], v[18:19], v[128:129]
	v_add_f64 v[134:135], v[130:131], v[128:129]
	v_mul_f64 v[128:129], v[132:133], s[16:17]
	v_fma_f64 v[130:131], v[60:61], s[8:9], v[142:143]
	v_fma_f64 v[132:133], v[36:37], s[10:11], v[128:129]
	v_add_f64 v[130:131], v[16:17], v[130:131]
	v_add_f64 v[136:137], v[132:133], v[130:131]
	v_mul_f64 v[130:131], v[165:166], s[22:23]
	v_mul_f64 v[165:166], v[165:166], s[20:21]
	v_fma_f64 v[132:133], v[26:27], s[6:7], -v[130:131]
	v_add_f64 v[138:139], v[132:133], v[134:135]
	v_mul_f64 v[132:133], v[167:168], s[22:23]
	v_mul_f64 v[167:168], v[167:168], s[20:21]
	v_fma_f64 v[134:135], v[24:25], s[6:7], v[132:133]
	v_add_f64 v[140:141], v[134:135], v[136:137]
	v_mul_f64 v[134:135], v[161:162], s[26:27]
	v_mul_f64 v[161:162], v[161:162], s[14:15]
	v_fma_f64 v[136:137], v[20:21], s[4:5], -v[134:135]
	v_add_f64 v[138:139], v[136:137], v[138:139]
	v_mul_f64 v[136:137], v[163:164], s[26:27]
	v_mul_f64 v[163:164], v[163:164], s[14:15]
	v_fma_f64 v[149:150], v[14:15], s[4:5], v[136:137]
	v_add_f64 v[140:141], v[149:150], v[140:141]
	v_fma_f64 v[149:150], v[10:11], s[0:1], -v[58:59]
	v_fma_f64 v[58:59], v[10:11], s[0:1], v[58:59]
	v_add_f64 v[149:150], v[149:150], v[138:139]
	v_fma_f64 v[138:139], v[2:3], s[0:1], v[56:57]
	v_fma_f64 v[56:57], v[2:3], s[0:1], -v[56:57]
	v_add_f64 v[179:180], v[138:139], v[140:141]
	v_mul_f64 v[138:139], v[153:154], s[18:19]
	v_mul_f64 v[153:154], v[153:154], s[16:17]
	v_fma_f64 v[140:141], v[4:5], s[12:13], -v[138:139]
	v_add_f64 v[151:152], v[140:141], v[149:150]
	v_mul_f64 v[140:141], v[155:156], s[18:19]
	v_mul_f64 v[155:156], v[155:156], s[16:17]
	v_fma_f64 v[149:150], v[0:1], s[12:13], v[140:141]
	v_add_f64 v[149:150], v[149:150], v[179:180]
	v_mad_u64_u32 v[179:180], null, s2, v181, 0
	v_mad_u64_u32 v[180:181], null, s3, v181, v[180:181]
	v_add_nc_u32_e32 v181, 0x3a8, v146
	v_lshlrev_b64 v[179:180], 4, v[179:180]
	v_add_co_u32 v179, vcc_lo, v147, v179
	v_add_co_ci_u32_e32 v180, vcc_lo, v148, v180, vcc_lo
	global_store_dwordx4 v[179:180], v[149:152], off
	v_fma_f64 v[149:150], v[62:63], s[4:5], -v[169:170]
	v_fma_f64 v[151:152], v[32:33], s[0:1], -v[173:174]
	v_fma_f64 v[179:180], v[36:37], s[0:1], v[175:176]
	v_add_f64 v[149:150], v[18:19], v[149:150]
	v_add_f64 v[149:150], v[151:152], v[149:150]
	v_fma_f64 v[151:152], v[60:61], s[4:5], v[171:172]
	v_add_f64 v[151:152], v[16:17], v[151:152]
	v_add_f64 v[151:152], v[179:180], v[151:152]
	v_fma_f64 v[179:180], v[26:27], s[8:9], -v[165:166]
	v_fma_f64 v[165:166], v[26:27], s[8:9], v[165:166]
	v_add_f64 v[149:150], v[179:180], v[149:150]
	v_fma_f64 v[179:180], v[24:25], s[8:9], v[167:168]
	v_add_f64 v[151:152], v[179:180], v[151:152]
	v_fma_f64 v[179:180], v[20:21], s[6:7], -v[161:162]
	v_fma_f64 v[161:162], v[20:21], s[6:7], v[161:162]
	v_add_f64 v[149:150], v[179:180], v[149:150]
	v_fma_f64 v[179:180], v[14:15], s[6:7], v[163:164]
	;; [unrolled: 5-line block ×3, first 2 shown]
	v_add_f64 v[179:180], v[179:180], v[151:152]
	v_fma_f64 v[151:152], v[4:5], s[10:11], -v[153:154]
	v_add_f64 v[151:152], v[151:152], v[149:150]
	v_fma_f64 v[149:150], v[0:1], s[10:11], v[155:156]
	v_add_f64 v[149:150], v[149:150], v[179:180]
	v_mad_u64_u32 v[179:180], null, s2, v181, 0
	v_mad_u64_u32 v[180:181], null, s3, v181, v[180:181]
	v_lshlrev_b64 v[179:180], 4, v[179:180]
	v_add_co_u32 v179, vcc_lo, v147, v179
	v_add_co_ci_u32_e32 v180, vcc_lo, v148, v180, vcc_lo
	global_store_dwordx4 v[179:180], v[149:152], off
	v_fma_f64 v[149:150], v[62:63], s[4:5], v[169:170]
	v_fma_f64 v[151:152], v[32:33], s[0:1], v[173:174]
	v_fma_f64 v[169:170], v[36:37], s[0:1], -v[175:176]
	v_add_f64 v[149:150], v[18:19], v[149:150]
	v_add_f64 v[149:150], v[151:152], v[149:150]
	v_fma_f64 v[151:152], v[60:61], s[4:5], -v[171:172]
	v_add_f64 v[149:150], v[165:166], v[149:150]
	v_add_f64 v[151:152], v[16:17], v[151:152]
	;; [unrolled: 3-line block ×5, first 2 shown]
	v_fma_f64 v[151:152], v[4:5], s[10:11], v[153:154]
	v_fma_f64 v[153:154], v[0:1], s[10:11], -v[155:156]
	v_add_nc_u32_e32 v155, 0x444, v146
	v_add_f64 v[151:152], v[151:152], v[149:150]
	v_add_f64 v[149:150], v[153:154], v[157:158]
	v_mad_u64_u32 v[153:154], null, s2, v155, 0
	v_mad_u64_u32 v[154:155], null, s3, v155, v[154:155]
	v_lshlrev_b64 v[153:154], 4, v[153:154]
	v_add_co_u32 v153, vcc_lo, v147, v153
	v_add_co_ci_u32_e32 v154, vcc_lo, v148, v154, vcc_lo
	global_store_dwordx4 v[153:154], v[149:152], off
	v_fma_f64 v[149:150], v[62:63], s[8:9], v[177:178]
	v_fma_f64 v[62:63], v[62:63], s[0:1], v[66:67]
	v_fma_f64 v[66:67], v[60:61], s[8:9], -v[142:143]
	v_fma_f64 v[60:61], v[60:61], s[0:1], -v[68:69]
	v_add_f64 v[142:143], v[18:19], v[144:145]
	v_add_f64 v[68:69], v[18:19], v[149:150]
	;; [unrolled: 1-line block ×5, first 2 shown]
	v_fma_f64 v[16:17], v[32:33], s[10:11], v[126:127]
	v_fma_f64 v[18:19], v[36:37], s[10:11], -v[128:129]
	v_add_f64 v[16:17], v[16:17], v[68:69]
	v_add_f64 v[18:19], v[18:19], v[66:67]
	v_fma_f64 v[66:67], v[26:27], s[6:7], v[130:131]
	v_fma_f64 v[68:69], v[32:33], s[4:5], v[94:95]
	v_fma_f64 v[94:95], v[36:37], s[4:5], -v[100:101]
	v_add_f64 v[16:17], v[66:67], v[16:17]
	v_fma_f64 v[66:67], v[24:25], s[6:7], -v[132:133]
	v_add_f64 v[18:19], v[66:67], v[18:19]
	v_fma_f64 v[66:67], v[20:21], s[4:5], v[134:135]
	v_add_f64 v[16:17], v[66:67], v[16:17]
	v_fma_f64 v[66:67], v[14:15], s[4:5], -v[136:137]
	v_add_f64 v[16:17], v[58:59], v[16:17]
	v_add_f64 v[18:19], v[66:67], v[18:19]
	v_fma_f64 v[58:59], v[0:1], s[12:13], -v[140:141]
	v_add_nc_u32_e32 v66, 0x57c, v146
	v_add_f64 v[56:57], v[56:57], v[18:19]
	v_fma_f64 v[18:19], v[4:5], s[12:13], v[138:139]
	v_add_f64 v[18:19], v[18:19], v[16:17]
	v_add_f64 v[16:17], v[58:59], v[56:57]
	v_add_nc_u32_e32 v58, 0x4e0, v146
	v_mad_u64_u32 v[56:57], null, s2, v58, 0
	v_mad_u64_u32 v[57:58], null, s3, v58, v[57:58]
	;; [unrolled: 1-line block ×3, first 2 shown]
	v_lshlrev_b64 v[56:57], 4, v[56:57]
	v_mad_u64_u32 v[66:67], null, s3, v66, v[59:60]
	v_add_co_u32 v56, vcc_lo, v147, v56
	v_add_co_ci_u32_e32 v57, vcc_lo, v148, v57, vcc_lo
	v_mov_b32_e32 v59, v66
	v_fma_f64 v[66:67], v[32:33], s[8:9], v[120:121]
	v_fma_f64 v[32:33], v[32:33], s[6:7], v[48:49]
	v_fma_f64 v[48:49], v[36:37], s[8:9], -v[122:123]
	v_fma_f64 v[36:37], v[36:37], s[6:7], -v[52:53]
	v_add_f64 v[52:53], v[66:67], v[142:143]
	v_fma_f64 v[66:67], v[26:27], s[12:13], v[98:99]
	v_fma_f64 v[26:27], v[26:27], s[10:11], v[54:55]
	v_add_f64 v[48:49], v[48:49], v[124:125]
	v_add_f64 v[32:33], v[32:33], v[62:63]
	v_fma_f64 v[54:55], v[24:25], s[12:13], -v[96:97]
	v_fma_f64 v[24:25], v[24:25], s[10:11], -v[50:51]
	v_add_f64 v[50:51], v[68:69], v[106:107]
	v_add_f64 v[68:69], v[94:95], v[104:105]
	v_fma_f64 v[62:63], v[20:21], s[8:9], v[74:75]
	v_add_f64 v[36:37], v[36:37], v[60:61]
	v_fma_f64 v[60:61], v[10:11], s[10:11], v[70:71]
	;; [unrolled: 2-line block ×3, first 2 shown]
	v_fma_f64 v[20:21], v[20:21], s[12:13], v[46:47]
	v_fma_f64 v[46:47], v[14:15], s[10:11], -v[116:117]
	v_add_f64 v[38:39], v[38:39], v[48:49]
	v_add_f64 v[26:27], v[26:27], v[32:33]
	v_fma_f64 v[14:15], v[14:15], s[12:13], -v[44:45]
	v_add_f64 v[44:45], v[66:67], v[50:51]
	v_add_f64 v[48:49], v[54:55], v[68:69]
	;; [unrolled: 1-line block ×6, first 2 shown]
	v_fma_f64 v[40:41], v[10:11], s[4:5], v[114:115]
	v_fma_f64 v[52:53], v[10:11], s[6:7], v[90:91]
	v_add_f64 v[36:37], v[46:47], v[38:39]
	v_add_f64 v[20:21], v[20:21], v[26:27]
	v_fma_f64 v[10:11], v[10:11], s[8:9], v[42:43]
	v_add_f64 v[30:31], v[30:31], v[44:45]
	v_add_f64 v[28:29], v[28:29], v[48:49]
	;; [unrolled: 1-line block ×5, first 2 shown]
	v_fma_f64 v[24:25], v[0:1], s[6:7], -v[110:111]
	v_add_nc_u32_e32 v48, 0x618, v146
	v_add_nc_u32_e32 v49, 0x6b4, v146
	v_fma_f64 v[44:45], v[4:5], s[0:1], v[6:7]
	v_mad_u64_u32 v[46:47], null, s2, v49, 0
	v_add_f64 v[26:27], v[40:41], v[32:33]
	v_fma_f64 v[32:33], v[2:3], s[4:5], -v[112:113]
	v_fma_f64 v[40:41], v[2:3], s[10:11], -v[64:65]
	v_add_f64 v[20:21], v[10:11], v[20:21]
	v_add_f64 v[34:35], v[34:35], v[14:15]
	;; [unrolled: 1-line block ×3, first 2 shown]
	v_add_nc_u32_e32 v15, 0x750, v146
	v_add_f64 v[32:33], v[32:33], v[36:37]
	v_fma_f64 v[36:37], v[2:3], s[6:7], -v[88:89]
	v_fma_f64 v[2:3], v[4:5], s[6:7], v[108:109]
	v_add_f64 v[40:41], v[40:41], v[42:43]
	v_mad_u64_u32 v[42:43], null, s2, v48, 0
	v_add_f64 v[28:29], v[36:37], v[28:29]
	v_add_f64 v[2:3], v[2:3], v[26:27]
	;; [unrolled: 1-line block ×3, first 2 shown]
	v_fma_f64 v[30:31], v[4:5], s[8:9], v[86:87]
	v_fma_f64 v[36:37], v[0:1], s[8:9], -v[84:85]
	v_mov_b32_e32 v0, v43
	v_add_f64 v[8:9], v[8:9], v[40:41]
	v_mad_u64_u32 v[10:11], null, s3, v48, v[0:1]
	v_add_f64 v[0:1], v[24:25], v[32:33]
	v_mad_u64_u32 v[24:25], null, s2, v15, 0
	v_mov_b32_e32 v11, v47
	v_lshlrev_b64 v[32:33], 4, v[58:59]
	v_mov_b32_e32 v43, v10
	v_mov_b32_e32 v14, v25
	v_add_f64 v[6:7], v[30:31], v[26:27]
	v_mad_u64_u32 v[26:27], null, s3, v49, v[11:12]
	v_add_f64 v[4:5], v[36:37], v[28:29]
	v_mad_u64_u32 v[29:30], null, s3, v15, v[14:15]
	v_add_f64 v[10:11], v[44:45], v[38:39]
	v_add_f64 v[14:15], v[22:23], v[20:21]
	;; [unrolled: 1-line block ×3, first 2 shown]
	v_mov_b32_e32 v47, v26
	v_lshlrev_b64 v[27:28], 4, v[42:43]
	v_add_co_u32 v20, vcc_lo, v147, v32
	v_mov_b32_e32 v25, v29
	v_lshlrev_b64 v[22:23], 4, v[46:47]
	v_add_co_ci_u32_e32 v21, vcc_lo, v148, v33, vcc_lo
	v_add_co_u32 v26, vcc_lo, v147, v27
	v_lshlrev_b64 v[24:25], 4, v[24:25]
	v_add_co_ci_u32_e32 v27, vcc_lo, v148, v28, vcc_lo
	v_add_co_u32 v22, vcc_lo, v147, v22
	v_add_co_ci_u32_e32 v23, vcc_lo, v148, v23, vcc_lo
	v_add_co_u32 v24, vcc_lo, v147, v24
	v_add_co_ci_u32_e32 v25, vcc_lo, v148, v25, vcc_lo
	global_store_dwordx4 v[56:57], v[16:19], off
	global_store_dwordx4 v[20:21], v[0:3], off
	;; [unrolled: 1-line block ×5, first 2 shown]
.LBB0_23:
	s_endpgm
	.section	.rodata,"a",@progbits
	.p2align	6, 0x0
	.amdhsa_kernel fft_rtc_back_len2028_factors_13_4_3_13_wgs_156_tpt_156_dp_op_CI_CI_sbrr_dirReg
		.amdhsa_group_segment_fixed_size 0
		.amdhsa_private_segment_fixed_size 0
		.amdhsa_kernarg_size 104
		.amdhsa_user_sgpr_count 6
		.amdhsa_user_sgpr_private_segment_buffer 1
		.amdhsa_user_sgpr_dispatch_ptr 0
		.amdhsa_user_sgpr_queue_ptr 0
		.amdhsa_user_sgpr_kernarg_segment_ptr 1
		.amdhsa_user_sgpr_dispatch_id 0
		.amdhsa_user_sgpr_flat_scratch_init 0
		.amdhsa_user_sgpr_private_segment_size 0
		.amdhsa_wavefront_size32 1
		.amdhsa_uses_dynamic_stack 0
		.amdhsa_system_sgpr_private_segment_wavefront_offset 0
		.amdhsa_system_sgpr_workgroup_id_x 1
		.amdhsa_system_sgpr_workgroup_id_y 0
		.amdhsa_system_sgpr_workgroup_id_z 0
		.amdhsa_system_sgpr_workgroup_info 0
		.amdhsa_system_vgpr_workitem_id 0
		.amdhsa_next_free_vgpr 193
		.amdhsa_next_free_sgpr 40
		.amdhsa_reserve_vcc 1
		.amdhsa_reserve_flat_scratch 0
		.amdhsa_float_round_mode_32 0
		.amdhsa_float_round_mode_16_64 0
		.amdhsa_float_denorm_mode_32 3
		.amdhsa_float_denorm_mode_16_64 3
		.amdhsa_dx10_clamp 1
		.amdhsa_ieee_mode 1
		.amdhsa_fp16_overflow 0
		.amdhsa_workgroup_processor_mode 1
		.amdhsa_memory_ordered 1
		.amdhsa_forward_progress 0
		.amdhsa_shared_vgpr_count 0
		.amdhsa_exception_fp_ieee_invalid_op 0
		.amdhsa_exception_fp_denorm_src 0
		.amdhsa_exception_fp_ieee_div_zero 0
		.amdhsa_exception_fp_ieee_overflow 0
		.amdhsa_exception_fp_ieee_underflow 0
		.amdhsa_exception_fp_ieee_inexact 0
		.amdhsa_exception_int_div_zero 0
	.end_amdhsa_kernel
	.text
.Lfunc_end0:
	.size	fft_rtc_back_len2028_factors_13_4_3_13_wgs_156_tpt_156_dp_op_CI_CI_sbrr_dirReg, .Lfunc_end0-fft_rtc_back_len2028_factors_13_4_3_13_wgs_156_tpt_156_dp_op_CI_CI_sbrr_dirReg
                                        ; -- End function
	.section	.AMDGPU.csdata,"",@progbits
; Kernel info:
; codeLenInByte = 14192
; NumSgprs: 42
; NumVgprs: 193
; ScratchSize: 0
; MemoryBound: 1
; FloatMode: 240
; IeeeMode: 1
; LDSByteSize: 0 bytes/workgroup (compile time only)
; SGPRBlocks: 5
; VGPRBlocks: 24
; NumSGPRsForWavesPerEU: 42
; NumVGPRsForWavesPerEU: 193
; Occupancy: 4
; WaveLimiterHint : 1
; COMPUTE_PGM_RSRC2:SCRATCH_EN: 0
; COMPUTE_PGM_RSRC2:USER_SGPR: 6
; COMPUTE_PGM_RSRC2:TRAP_HANDLER: 0
; COMPUTE_PGM_RSRC2:TGID_X_EN: 1
; COMPUTE_PGM_RSRC2:TGID_Y_EN: 0
; COMPUTE_PGM_RSRC2:TGID_Z_EN: 0
; COMPUTE_PGM_RSRC2:TIDIG_COMP_CNT: 0
	.text
	.p2alignl 6, 3214868480
	.fill 48, 4, 3214868480
	.type	__hip_cuid_4ca8f0fc162ed66c,@object ; @__hip_cuid_4ca8f0fc162ed66c
	.section	.bss,"aw",@nobits
	.globl	__hip_cuid_4ca8f0fc162ed66c
__hip_cuid_4ca8f0fc162ed66c:
	.byte	0                               ; 0x0
	.size	__hip_cuid_4ca8f0fc162ed66c, 1

	.ident	"AMD clang version 19.0.0git (https://github.com/RadeonOpenCompute/llvm-project roc-6.4.0 25133 c7fe45cf4b819c5991fe208aaa96edf142730f1d)"
	.section	".note.GNU-stack","",@progbits
	.addrsig
	.addrsig_sym __hip_cuid_4ca8f0fc162ed66c
	.amdgpu_metadata
---
amdhsa.kernels:
  - .args:
      - .actual_access:  read_only
        .address_space:  global
        .offset:         0
        .size:           8
        .value_kind:     global_buffer
      - .offset:         8
        .size:           8
        .value_kind:     by_value
      - .actual_access:  read_only
        .address_space:  global
        .offset:         16
        .size:           8
        .value_kind:     global_buffer
      - .actual_access:  read_only
        .address_space:  global
        .offset:         24
        .size:           8
        .value_kind:     global_buffer
      - .actual_access:  read_only
        .address_space:  global
        .offset:         32
        .size:           8
        .value_kind:     global_buffer
      - .offset:         40
        .size:           8
        .value_kind:     by_value
      - .actual_access:  read_only
        .address_space:  global
        .offset:         48
        .size:           8
        .value_kind:     global_buffer
      - .actual_access:  read_only
        .address_space:  global
        .offset:         56
        .size:           8
        .value_kind:     global_buffer
      - .offset:         64
        .size:           4
        .value_kind:     by_value
      - .actual_access:  read_only
        .address_space:  global
        .offset:         72
        .size:           8
        .value_kind:     global_buffer
      - .actual_access:  read_only
        .address_space:  global
        .offset:         80
        .size:           8
        .value_kind:     global_buffer
      - .actual_access:  read_only
        .address_space:  global
        .offset:         88
        .size:           8
        .value_kind:     global_buffer
      - .actual_access:  write_only
        .address_space:  global
        .offset:         96
        .size:           8
        .value_kind:     global_buffer
    .group_segment_fixed_size: 0
    .kernarg_segment_align: 8
    .kernarg_segment_size: 104
    .language:       OpenCL C
    .language_version:
      - 2
      - 0
    .max_flat_workgroup_size: 156
    .name:           fft_rtc_back_len2028_factors_13_4_3_13_wgs_156_tpt_156_dp_op_CI_CI_sbrr_dirReg
    .private_segment_fixed_size: 0
    .sgpr_count:     42
    .sgpr_spill_count: 0
    .symbol:         fft_rtc_back_len2028_factors_13_4_3_13_wgs_156_tpt_156_dp_op_CI_CI_sbrr_dirReg.kd
    .uniform_work_group_size: 1
    .uses_dynamic_stack: false
    .vgpr_count:     193
    .vgpr_spill_count: 0
    .wavefront_size: 32
    .workgroup_processor_mode: 1
amdhsa.target:   amdgcn-amd-amdhsa--gfx1030
amdhsa.version:
  - 1
  - 2
...

	.end_amdgpu_metadata
